;; amdgpu-corpus repo=ROCm/rocFFT kind=compiled arch=gfx906 opt=O3
	.text
	.amdgcn_target "amdgcn-amd-amdhsa--gfx906"
	.amdhsa_code_object_version 6
	.protected	fft_rtc_back_len1360_factors_17_5_16_wgs_255_tpt_85_halfLds_dp_ip_CI_sbrr_dirReg ; -- Begin function fft_rtc_back_len1360_factors_17_5_16_wgs_255_tpt_85_halfLds_dp_ip_CI_sbrr_dirReg
	.globl	fft_rtc_back_len1360_factors_17_5_16_wgs_255_tpt_85_halfLds_dp_ip_CI_sbrr_dirReg
	.p2align	8
	.type	fft_rtc_back_len1360_factors_17_5_16_wgs_255_tpt_85_halfLds_dp_ip_CI_sbrr_dirReg,@function
fft_rtc_back_len1360_factors_17_5_16_wgs_255_tpt_85_halfLds_dp_ip_CI_sbrr_dirReg: ; @fft_rtc_back_len1360_factors_17_5_16_wgs_255_tpt_85_halfLds_dp_ip_CI_sbrr_dirReg
; %bb.0:
	s_load_dwordx2 s[2:3], s[4:5], 0x18
	s_load_dwordx4 s[8:11], s[4:5], 0x0
	s_load_dwordx2 s[14:15], s[4:5], 0x50
	v_mul_u32_u24_e32 v1, 0x304, v0
	v_lshrrev_b32_e32 v1, 16, v1
	v_mad_u64_u32 v[68:69], s[0:1], s6, 3, v[1:2]
	s_waitcnt lgkmcnt(0)
	s_load_dwordx2 s[12:13], s[2:3], 0x0
	v_mov_b32_e32 v3, 0
	v_cmp_lt_u64_e64 s[0:1], s[10:11], 2
	v_mov_b32_e32 v69, v3
	v_mov_b32_e32 v1, 0
	;; [unrolled: 1-line block ×3, first 2 shown]
	s_and_b64 vcc, exec, s[0:1]
	v_mov_b32_e32 v2, 0
	v_mov_b32_e32 v8, v69
	s_cbranch_vccnz .LBB0_8
; %bb.1:
	s_load_dwordx2 s[0:1], s[4:5], 0x10
	s_add_u32 s6, s2, 8
	s_addc_u32 s7, s3, 0
	v_mov_b32_e32 v1, 0
	v_mov_b32_e32 v5, v68
	s_waitcnt lgkmcnt(0)
	s_add_u32 s18, s0, 8
	s_mov_b64 s[16:17], 1
	v_mov_b32_e32 v2, 0
	s_addc_u32 s19, s1, 0
	v_mov_b32_e32 v6, v69
.LBB0_2:                                ; =>This Inner Loop Header: Depth=1
	s_load_dwordx2 s[20:21], s[18:19], 0x0
                                        ; implicit-def: $vgpr7_vgpr8
	s_waitcnt lgkmcnt(0)
	v_or_b32_e32 v4, s21, v6
	v_cmp_ne_u64_e32 vcc, 0, v[3:4]
	s_and_saveexec_b64 s[0:1], vcc
	s_xor_b64 s[22:23], exec, s[0:1]
	s_cbranch_execz .LBB0_4
; %bb.3:                                ;   in Loop: Header=BB0_2 Depth=1
	v_cvt_f32_u32_e32 v4, s20
	v_cvt_f32_u32_e32 v7, s21
	s_sub_u32 s0, 0, s20
	s_subb_u32 s1, 0, s21
	v_mac_f32_e32 v4, 0x4f800000, v7
	v_rcp_f32_e32 v4, v4
	v_mul_f32_e32 v4, 0x5f7ffffc, v4
	v_mul_f32_e32 v7, 0x2f800000, v4
	v_trunc_f32_e32 v7, v7
	v_mac_f32_e32 v4, 0xcf800000, v7
	v_cvt_u32_f32_e32 v7, v7
	v_cvt_u32_f32_e32 v4, v4
	v_mul_lo_u32 v8, s0, v7
	v_mul_hi_u32 v9, s0, v4
	v_mul_lo_u32 v11, s1, v4
	v_mul_lo_u32 v10, s0, v4
	v_add_u32_e32 v8, v9, v8
	v_add_u32_e32 v8, v8, v11
	v_mul_hi_u32 v9, v4, v10
	v_mul_lo_u32 v11, v4, v8
	v_mul_hi_u32 v13, v4, v8
	v_mul_hi_u32 v12, v7, v10
	v_mul_lo_u32 v10, v7, v10
	v_mul_hi_u32 v14, v7, v8
	v_add_co_u32_e32 v9, vcc, v9, v11
	v_addc_co_u32_e32 v11, vcc, 0, v13, vcc
	v_mul_lo_u32 v8, v7, v8
	v_add_co_u32_e32 v9, vcc, v9, v10
	v_addc_co_u32_e32 v9, vcc, v11, v12, vcc
	v_addc_co_u32_e32 v10, vcc, 0, v14, vcc
	v_add_co_u32_e32 v8, vcc, v9, v8
	v_addc_co_u32_e32 v9, vcc, 0, v10, vcc
	v_add_co_u32_e32 v4, vcc, v4, v8
	v_addc_co_u32_e32 v7, vcc, v7, v9, vcc
	v_mul_lo_u32 v8, s0, v7
	v_mul_hi_u32 v9, s0, v4
	v_mul_lo_u32 v10, s1, v4
	v_mul_lo_u32 v11, s0, v4
	v_add_u32_e32 v8, v9, v8
	v_add_u32_e32 v8, v8, v10
	v_mul_lo_u32 v12, v4, v8
	v_mul_hi_u32 v13, v4, v11
	v_mul_hi_u32 v14, v4, v8
	;; [unrolled: 1-line block ×3, first 2 shown]
	v_mul_lo_u32 v11, v7, v11
	v_mul_hi_u32 v9, v7, v8
	v_add_co_u32_e32 v12, vcc, v13, v12
	v_addc_co_u32_e32 v13, vcc, 0, v14, vcc
	v_mul_lo_u32 v8, v7, v8
	v_add_co_u32_e32 v11, vcc, v12, v11
	v_addc_co_u32_e32 v10, vcc, v13, v10, vcc
	v_addc_co_u32_e32 v9, vcc, 0, v9, vcc
	v_add_co_u32_e32 v8, vcc, v10, v8
	v_addc_co_u32_e32 v9, vcc, 0, v9, vcc
	v_add_co_u32_e32 v4, vcc, v4, v8
	v_addc_co_u32_e32 v9, vcc, v7, v9, vcc
	v_mad_u64_u32 v[7:8], s[0:1], v5, v9, 0
	v_mul_hi_u32 v10, v5, v4
	v_add_co_u32_e32 v11, vcc, v10, v7
	v_addc_co_u32_e32 v12, vcc, 0, v8, vcc
	v_mad_u64_u32 v[7:8], s[0:1], v6, v4, 0
	v_mad_u64_u32 v[9:10], s[0:1], v6, v9, 0
	v_add_co_u32_e32 v4, vcc, v11, v7
	v_addc_co_u32_e32 v4, vcc, v12, v8, vcc
	v_addc_co_u32_e32 v7, vcc, 0, v10, vcc
	v_add_co_u32_e32 v4, vcc, v4, v9
	v_addc_co_u32_e32 v9, vcc, 0, v7, vcc
	v_mul_lo_u32 v10, s21, v4
	v_mul_lo_u32 v11, s20, v9
	v_mad_u64_u32 v[7:8], s[0:1], s20, v4, 0
	v_add3_u32 v8, v8, v11, v10
	v_sub_u32_e32 v10, v6, v8
	v_mov_b32_e32 v11, s21
	v_sub_co_u32_e32 v7, vcc, v5, v7
	v_subb_co_u32_e64 v10, s[0:1], v10, v11, vcc
	v_subrev_co_u32_e64 v11, s[0:1], s20, v7
	v_subbrev_co_u32_e64 v10, s[0:1], 0, v10, s[0:1]
	v_cmp_le_u32_e64 s[0:1], s21, v10
	v_cndmask_b32_e64 v12, 0, -1, s[0:1]
	v_cmp_le_u32_e64 s[0:1], s20, v11
	v_cndmask_b32_e64 v11, 0, -1, s[0:1]
	v_cmp_eq_u32_e64 s[0:1], s21, v10
	v_cndmask_b32_e64 v10, v12, v11, s[0:1]
	v_add_co_u32_e64 v11, s[0:1], 2, v4
	v_addc_co_u32_e64 v12, s[0:1], 0, v9, s[0:1]
	v_add_co_u32_e64 v13, s[0:1], 1, v4
	v_addc_co_u32_e64 v14, s[0:1], 0, v9, s[0:1]
	v_subb_co_u32_e32 v8, vcc, v6, v8, vcc
	v_cmp_ne_u32_e64 s[0:1], 0, v10
	v_cmp_le_u32_e32 vcc, s21, v8
	v_cndmask_b32_e64 v10, v14, v12, s[0:1]
	v_cndmask_b32_e64 v12, 0, -1, vcc
	v_cmp_le_u32_e32 vcc, s20, v7
	v_cndmask_b32_e64 v7, 0, -1, vcc
	v_cmp_eq_u32_e32 vcc, s21, v8
	v_cndmask_b32_e32 v7, v12, v7, vcc
	v_cmp_ne_u32_e32 vcc, 0, v7
	v_cndmask_b32_e64 v7, v13, v11, s[0:1]
	v_cndmask_b32_e32 v8, v9, v10, vcc
	v_cndmask_b32_e32 v7, v4, v7, vcc
.LBB0_4:                                ;   in Loop: Header=BB0_2 Depth=1
	s_andn2_saveexec_b64 s[0:1], s[22:23]
	s_cbranch_execz .LBB0_6
; %bb.5:                                ;   in Loop: Header=BB0_2 Depth=1
	v_cvt_f32_u32_e32 v4, s20
	s_sub_i32 s22, 0, s20
	v_rcp_iflag_f32_e32 v4, v4
	v_mul_f32_e32 v4, 0x4f7ffffe, v4
	v_cvt_u32_f32_e32 v4, v4
	v_mul_lo_u32 v7, s22, v4
	v_mul_hi_u32 v7, v4, v7
	v_add_u32_e32 v4, v4, v7
	v_mul_hi_u32 v4, v5, v4
	v_mul_lo_u32 v7, v4, s20
	v_add_u32_e32 v8, 1, v4
	v_sub_u32_e32 v7, v5, v7
	v_subrev_u32_e32 v9, s20, v7
	v_cmp_le_u32_e32 vcc, s20, v7
	v_cndmask_b32_e32 v7, v7, v9, vcc
	v_cndmask_b32_e32 v4, v4, v8, vcc
	v_add_u32_e32 v8, 1, v4
	v_cmp_le_u32_e32 vcc, s20, v7
	v_cndmask_b32_e32 v7, v4, v8, vcc
	v_mov_b32_e32 v8, v3
.LBB0_6:                                ;   in Loop: Header=BB0_2 Depth=1
	s_or_b64 exec, exec, s[0:1]
	v_mul_lo_u32 v4, v8, s20
	v_mul_lo_u32 v11, v7, s21
	v_mad_u64_u32 v[9:10], s[0:1], v7, s20, 0
	s_load_dwordx2 s[0:1], s[6:7], 0x0
	s_add_u32 s16, s16, 1
	v_add3_u32 v4, v10, v11, v4
	v_sub_co_u32_e32 v5, vcc, v5, v9
	v_subb_co_u32_e32 v4, vcc, v6, v4, vcc
	s_waitcnt lgkmcnt(0)
	v_mul_lo_u32 v4, s0, v4
	v_mul_lo_u32 v6, s1, v5
	v_mad_u64_u32 v[1:2], s[0:1], s0, v5, v[1:2]
	s_addc_u32 s17, s17, 0
	s_add_u32 s6, s6, 8
	v_add3_u32 v2, v6, v2, v4
	v_mov_b32_e32 v4, s10
	v_mov_b32_e32 v5, s11
	s_addc_u32 s7, s7, 0
	v_cmp_ge_u64_e32 vcc, s[16:17], v[4:5]
	s_add_u32 s18, s18, 8
	s_addc_u32 s19, s19, 0
	s_cbranch_vccnz .LBB0_8
; %bb.7:                                ;   in Loop: Header=BB0_2 Depth=1
	v_mov_b32_e32 v5, v7
	v_mov_b32_e32 v6, v8
	s_branch .LBB0_2
.LBB0_8:
	s_lshl_b64 s[0:1], s[10:11], 3
	s_add_u32 s0, s2, s0
	s_addc_u32 s1, s3, s1
	s_load_dwordx2 s[2:3], s[0:1], 0x0
	s_load_dwordx2 s[6:7], s[4:5], 0x20
	v_mov_b32_e32 v164, 0
                                        ; implicit-def: $vgpr66_vgpr67
                                        ; implicit-def: $vgpr62_vgpr63
                                        ; implicit-def: $vgpr58_vgpr59
                                        ; implicit-def: $vgpr54_vgpr55
                                        ; implicit-def: $vgpr50_vgpr51
                                        ; implicit-def: $vgpr42_vgpr43
                                        ; implicit-def: $vgpr38_vgpr39
                                        ; implicit-def: $vgpr30_vgpr31
                                        ; implicit-def: $vgpr26_vgpr27
                                        ; implicit-def: $vgpr22_vgpr23
                                        ; implicit-def: $vgpr14_vgpr15
                                        ; implicit-def: $vgpr10_vgpr11
                                        ; implicit-def: $vgpr18_vgpr19
                                        ; implicit-def: $vgpr34_vgpr35
                                        ; implicit-def: $vgpr46_vgpr47
	s_waitcnt lgkmcnt(0)
	v_mad_u64_u32 v[96:97], s[0:1], s2, v7, v[1:2]
	s_mov_b32 s0, 0x3030304
	v_mul_hi_u32 v1, v0, s0
	v_mul_lo_u32 v3, s2, v8
	v_mul_lo_u32 v4, s3, v7
	v_cmp_gt_u64_e32 vcc, s[6:7], v[7:8]
	v_mul_u32_u24_e32 v1, 0x55, v1
	v_sub_u32_e32 v165, v0, v1
	v_add3_u32 v97, v4, v97, v3
                                        ; implicit-def: $vgpr6_vgpr7
                                        ; implicit-def: $vgpr2_vgpr3
	s_and_saveexec_b64 s[2:3], vcc
	s_cbranch_execz .LBB0_12
; %bb.9:
	s_movk_i32 s0, 0x50
	v_cmp_gt_u32_e64 s[0:1], s0, v165
                                        ; implicit-def: $vgpr0_vgpr1
                                        ; implicit-def: $vgpr44_vgpr45
                                        ; implicit-def: $vgpr32_vgpr33
                                        ; implicit-def: $vgpr16_vgpr17
                                        ; implicit-def: $vgpr8_vgpr9
                                        ; implicit-def: $vgpr4_vgpr5
                                        ; implicit-def: $vgpr12_vgpr13
                                        ; implicit-def: $vgpr20_vgpr21
                                        ; implicit-def: $vgpr24_vgpr25
                                        ; implicit-def: $vgpr28_vgpr29
                                        ; implicit-def: $vgpr36_vgpr37
                                        ; implicit-def: $vgpr40_vgpr41
                                        ; implicit-def: $vgpr48_vgpr49
                                        ; implicit-def: $vgpr52_vgpr53
                                        ; implicit-def: $vgpr56_vgpr57
                                        ; implicit-def: $vgpr60_vgpr61
                                        ; implicit-def: $vgpr64_vgpr65
	s_and_saveexec_b64 s[4:5], s[0:1]
	s_cbranch_execz .LBB0_11
; %bb.10:
	v_mad_u64_u32 v[0:1], s[0:1], s12, v165, 0
	v_add_u32_e32 v7, 0x50, v165
	v_mad_u64_u32 v[4:5], s[0:1], s12, v7, 0
	v_mad_u64_u32 v[1:2], s[0:1], s13, v165, v[1:2]
	v_lshlrev_b64 v[2:3], 4, v[96:97]
	v_mov_b32_e32 v6, s15
	v_add_co_u32_e64 v12, s[0:1], s14, v2
	v_mov_b32_e32 v2, v5
	v_addc_co_u32_e64 v13, s[0:1], v6, v3, s[0:1]
	v_mad_u64_u32 v[2:3], s[0:1], s13, v7, v[2:3]
	v_add_u32_e32 v3, 0xa0, v165
	v_mad_u64_u32 v[6:7], s[0:1], s12, v3, 0
	v_lshlrev_b64 v[0:1], 4, v[0:1]
	v_mov_b32_e32 v5, v2
	v_add_co_u32_e64 v8, s[0:1], v12, v0
	v_mov_b32_e32 v2, v7
	v_addc_co_u32_e64 v9, s[0:1], v13, v1, s[0:1]
	v_lshlrev_b64 v[0:1], 4, v[4:5]
	v_mad_u64_u32 v[2:3], s[0:1], s13, v3, v[2:3]
	v_add_u32_e32 v5, 0xf0, v165
	v_mad_u64_u32 v[3:4], s[0:1], s12, v5, 0
	v_add_co_u32_e64 v10, s[0:1], v12, v0
	v_mov_b32_e32 v7, v2
	v_mov_b32_e32 v2, v4
	v_addc_co_u32_e64 v11, s[0:1], v13, v1, s[0:1]
	v_lshlrev_b64 v[0:1], 4, v[6:7]
	v_mad_u64_u32 v[4:5], s[0:1], s13, v5, v[2:3]
	v_add_u32_e32 v7, 0x140, v165
	v_mad_u64_u32 v[5:6], s[0:1], s12, v7, 0
	v_add_co_u32_e64 v16, s[0:1], v12, v0
	v_mov_b32_e32 v2, v6
	v_addc_co_u32_e64 v17, s[0:1], v13, v1, s[0:1]
	v_lshlrev_b64 v[0:1], 4, v[3:4]
	v_mad_u64_u32 v[2:3], s[0:1], s13, v7, v[2:3]
	v_add_u32_e32 v7, 0x190, v165
	v_mad_u64_u32 v[3:4], s[0:1], s12, v7, 0
	v_add_co_u32_e64 v18, s[0:1], v12, v0
	v_mov_b32_e32 v6, v2
	v_mov_b32_e32 v2, v4
	v_addc_co_u32_e64 v19, s[0:1], v13, v1, s[0:1]
	v_lshlrev_b64 v[0:1], 4, v[5:6]
	v_mad_u64_u32 v[4:5], s[0:1], s13, v7, v[2:3]
	v_add_u32_e32 v7, 0x1e0, v165
	v_mad_u64_u32 v[5:6], s[0:1], s12, v7, 0
	v_add_co_u32_e64 v69, s[0:1], v12, v0
	v_mov_b32_e32 v2, v6
	v_addc_co_u32_e64 v70, s[0:1], v13, v1, s[0:1]
	v_lshlrev_b64 v[0:1], 4, v[3:4]
	v_mad_u64_u32 v[2:3], s[0:1], s13, v7, v[2:3]
	v_add_u32_e32 v7, 0x230, v165
	v_mad_u64_u32 v[3:4], s[0:1], s12, v7, 0
	v_add_co_u32_e64 v71, s[0:1], v12, v0
	v_mov_b32_e32 v6, v2
	v_mov_b32_e32 v2, v4
	v_addc_co_u32_e64 v72, s[0:1], v13, v1, s[0:1]
	v_lshlrev_b64 v[0:1], 4, v[5:6]
	v_mad_u64_u32 v[4:5], s[0:1], s13, v7, v[2:3]
	v_or_b32_e32 v7, 0x280, v165
	v_mad_u64_u32 v[5:6], s[0:1], s12, v7, 0
	v_add_co_u32_e64 v73, s[0:1], v12, v0
	v_mov_b32_e32 v2, v6
	v_addc_co_u32_e64 v74, s[0:1], v13, v1, s[0:1]
	v_lshlrev_b64 v[0:1], 4, v[3:4]
	v_mad_u64_u32 v[2:3], s[0:1], s13, v7, v[2:3]
	v_add_u32_e32 v7, 0x2d0, v165
	v_mad_u64_u32 v[3:4], s[0:1], s12, v7, 0
	v_add_co_u32_e64 v75, s[0:1], v12, v0
	v_mov_b32_e32 v6, v2
	v_mov_b32_e32 v2, v4
	v_addc_co_u32_e64 v76, s[0:1], v13, v1, s[0:1]
	v_lshlrev_b64 v[0:1], 4, v[5:6]
	v_mad_u64_u32 v[4:5], s[0:1], s13, v7, v[2:3]
	v_add_u32_e32 v7, 0x320, v165
	v_mad_u64_u32 v[5:6], s[0:1], s12, v7, 0
	v_add_co_u32_e64 v77, s[0:1], v12, v0
	v_mov_b32_e32 v2, v6
	v_addc_co_u32_e64 v78, s[0:1], v13, v1, s[0:1]
	v_lshlrev_b64 v[0:1], 4, v[3:4]
	v_mad_u64_u32 v[2:3], s[0:1], s13, v7, v[2:3]
	v_add_u32_e32 v7, 0x370, v165
	v_mad_u64_u32 v[3:4], s[0:1], s12, v7, 0
	v_add_co_u32_e64 v79, s[0:1], v12, v0
	v_mov_b32_e32 v6, v2
	v_mov_b32_e32 v2, v4
	v_addc_co_u32_e64 v80, s[0:1], v13, v1, s[0:1]
	v_lshlrev_b64 v[0:1], 4, v[5:6]
	v_mad_u64_u32 v[4:5], s[0:1], s13, v7, v[2:3]
	v_add_u32_e32 v7, 0x3c0, v165
	;; [unrolled: 15-line block ×3, first 2 shown]
	v_mad_u64_u32 v[5:6], s[0:1], s12, v7, 0
	v_add_co_u32_e64 v85, s[0:1], v12, v0
	v_mov_b32_e32 v2, v6
	v_addc_co_u32_e64 v86, s[0:1], v13, v1, s[0:1]
	v_lshlrev_b64 v[0:1], 4, v[3:4]
	v_mad_u64_u32 v[2:3], s[0:1], s13, v7, v[2:3]
	v_add_u32_e32 v7, 0x4b0, v165
	v_mad_u64_u32 v[3:4], s[0:1], s12, v7, 0
	v_add_co_u32_e64 v87, s[0:1], v12, v0
	v_mov_b32_e32 v6, v2
	v_mov_b32_e32 v2, v4
	v_addc_co_u32_e64 v88, s[0:1], v13, v1, s[0:1]
	v_lshlrev_b64 v[0:1], 4, v[5:6]
	v_mad_u64_u32 v[4:5], s[0:1], s13, v7, v[2:3]
	v_or_b32_e32 v7, 0x500, v165
	v_mad_u64_u32 v[5:6], s[0:1], s12, v7, 0
	v_add_co_u32_e64 v89, s[0:1], v12, v0
	v_mov_b32_e32 v2, v6
	v_addc_co_u32_e64 v90, s[0:1], v13, v1, s[0:1]
	v_lshlrev_b64 v[0:1], 4, v[3:4]
	v_mad_u64_u32 v[2:3], s[0:1], s13, v7, v[2:3]
	v_add_co_u32_e64 v91, s[0:1], v12, v0
	v_mov_b32_e32 v6, v2
	v_addc_co_u32_e64 v92, s[0:1], v13, v1, s[0:1]
	v_lshlrev_b64 v[0:1], 4, v[5:6]
	v_add_co_u32_e64 v93, s[0:1], v12, v0
	v_addc_co_u32_e64 v94, s[0:1], v13, v1, s[0:1]
	global_load_dwordx4 v[0:3], v[8:9], off
	global_load_dwordx4 v[64:67], v[10:11], off
	;; [unrolled: 1-line block ×15, first 2 shown]
                                        ; kill: killed $vgpr85 killed $vgpr86
                                        ; kill: killed $vgpr69 killed $vgpr70
                                        ; kill: killed $vgpr87 killed $vgpr88
                                        ; kill: killed $vgpr71 killed $vgpr72
                                        ; kill: killed $vgpr89 killed $vgpr90
                                        ; kill: killed $vgpr73 killed $vgpr74
                                        ; kill: killed $vgpr75 killed $vgpr76
                                        ; kill: killed $vgpr77 killed $vgpr78
                                        ; kill: killed $vgpr8 killed $vgpr9
                                        ; kill: killed $vgpr79 killed $vgpr80
                                        ; kill: killed $vgpr10 killed $vgpr11
                                        ; kill: killed $vgpr81 killed $vgpr82
                                        ; kill: killed $vgpr16 killed $vgpr17
                                        ; kill: killed $vgpr83 killed $vgpr84
                                        ; kill: killed $vgpr18 killed $vgpr19
	global_load_dwordx4 v[16:19], v[91:92], off
	global_load_dwordx4 v[8:11], v[93:94], off
.LBB0_11:
	s_or_b64 exec, exec, s[4:5]
	v_mov_b32_e32 v164, v165
.LBB0_12:
	s_or_b64 exec, exec, s[2:3]
	s_waitcnt vmcnt(0)
	v_add_f64 v[69:70], v[66:67], -v[10:11]
	s_mov_b32 s0, 0x5d8e7cdc
	s_mov_b32 s10, 0x2a9d6da3
	;; [unrolled: 1-line block ×4, first 2 shown]
	v_add_f64 v[71:72], v[64:65], v[8:9]
	v_add_f64 v[73:74], v[62:63], -v[18:19]
	s_mov_b32 s6, 0x370991
	v_mul_f64 v[75:76], v[69:70], s[0:1]
	v_mul_f64 v[79:80], v[69:70], s[10:11]
	s_mov_b32 s16, 0x75d4884
	s_mov_b32 s4, 0xeb564b22
	;; [unrolled: 1-line block ×5, first 2 shown]
	v_add_f64 v[83:84], v[60:61], v[16:17]
	v_mul_f64 v[77:78], v[73:74], s[10:11]
	v_fma_f64 v[87:88], v[71:72], s[6:7], -v[75:76]
	v_mul_f64 v[81:82], v[73:74], s[4:5]
	v_fma_f64 v[89:90], v[71:72], s[16:17], -v[79:80]
	s_mov_b32 s22, 0x3259b75e
	s_mov_b32 s23, 0x3fb79ee6
	v_add_f64 v[85:86], v[58:59], -v[6:7]
	s_mov_b32 s18, 0x7c9e640b
	v_fma_f64 v[91:92], v[83:84], s[16:17], -v[77:78]
	v_add_f64 v[98:99], v[87:88], v[0:1]
	v_fma_f64 v[100:101], v[83:84], s[22:23], -v[81:82]
	v_add_f64 v[89:90], v[89:90], v[0:1]
	s_mov_b32 s20, 0x6c9a05f6
	s_mov_b32 s19, 0xbfeca52d
	;; [unrolled: 1-line block ×3, first 2 shown]
	v_add_f64 v[93:94], v[56:57], v[4:5]
	v_mul_f64 v[87:88], v[85:86], s[18:19]
	v_add_f64 v[98:99], v[91:92], v[98:99]
	v_mul_f64 v[91:92], v[85:86], s[20:21]
	v_add_f64 v[100:101], v[100:101], v[89:90]
	v_add_f64 v[89:90], v[54:55], -v[14:15]
	s_mov_b32 s26, 0x2b2883cd
	s_mov_b32 s28, 0x6ed5f1bb
	;; [unrolled: 1-line block ×6, first 2 shown]
	v_fma_f64 v[106:107], v[93:94], s[26:27], -v[87:88]
	v_fma_f64 v[108:109], v[93:94], s[28:29], -v[91:92]
	v_add_f64 v[110:111], v[52:53], v[12:13]
	v_mul_f64 v[102:103], v[89:90], s[4:5]
	v_mul_f64 v[104:105], v[89:90], s[30:31]
	s_mov_b32 s40, 0x7faef3
	s_mov_b32 s41, 0xbfef7484
	;; [unrolled: 1-line block ×3, first 2 shown]
	v_add_f64 v[98:99], v[106:107], v[98:99]
	v_add_f64 v[100:101], v[108:109], v[100:101]
	v_add_f64 v[106:107], v[50:51], -v[22:23]
	v_fma_f64 v[112:113], v[110:111], s[22:23], -v[102:103]
	v_fma_f64 v[114:115], v[110:111], s[40:41], -v[104:105]
	s_mov_b32 s24, 0x4363dd80
	s_mov_b32 s37, 0xbfeec746
	;; [unrolled: 1-line block ×3, first 2 shown]
	v_add_f64 v[124:125], v[48:49], v[20:21]
	s_mov_b32 s44, 0xc61f0d01
	v_mul_f64 v[108:109], v[106:107], s[36:37]
	v_add_f64 v[98:99], v[112:113], v[98:99]
	v_mul_f64 v[112:113], v[106:107], s[24:25]
	v_add_f64 v[100:101], v[114:115], v[100:101]
	v_add_f64 v[114:115], v[46:47], -v[26:27]
	s_mov_b32 s46, 0x910ea3b9
	s_mov_b32 s45, 0xbfd183b1
	;; [unrolled: 1-line block ×5, first 2 shown]
	v_fma_f64 v[122:123], v[124:125], s[44:45], -v[108:109]
	v_fma_f64 v[126:127], v[124:125], s[46:47], -v[112:113]
	v_add_f64 v[134:135], v[24:25], v[44:45]
	v_mul_f64 v[116:117], v[114:115], s[20:21]
	v_mul_f64 v[118:119], v[114:115], s[42:43]
	v_add_f64 v[120:121], v[42:43], -v[30:31]
	s_mov_b32 s39, 0xbfe0d888
	s_mov_b32 s38, s24
	;; [unrolled: 1-line block ×4, first 2 shown]
	v_add_f64 v[98:99], v[122:123], v[98:99]
	v_add_f64 v[100:101], v[126:127], v[100:101]
	v_fma_f64 v[130:131], v[134:135], s[28:29], -v[116:117]
	v_fma_f64 v[132:133], v[134:135], s[44:45], -v[118:119]
	v_add_f64 v[136:137], v[40:41], v[28:29]
	v_mul_f64 v[126:127], v[120:121], s[38:39]
	v_mul_f64 v[128:129], v[120:121], s[48:49]
	v_add_f64 v[122:123], v[38:39], -v[34:35]
	s_mov_b32 s51, 0x3fd71e95
	s_mov_b32 s50, s0
	v_add_f64 v[98:99], v[130:131], v[98:99]
	v_add_f64 v[100:101], v[132:133], v[100:101]
	;; [unrolled: 1-line block ×3, first 2 shown]
	v_fma_f64 v[140:141], v[136:137], s[46:47], -v[126:127]
	v_fma_f64 v[142:143], v[136:137], s[26:27], -v[128:129]
	v_mul_f64 v[130:131], v[122:123], s[30:31]
	v_mul_f64 v[132:133], v[122:123], s[50:51]
	s_mov_b32 s2, 0xaaaaaaab
	v_mul_hi_u32 v95, v68, s2
	s_movk_i32 s2, 0x50
	v_cmp_gt_u32_e64 s[2:3], s2, v165
	v_add_f64 v[98:99], v[140:141], v[98:99]
	v_add_f64 v[140:141], v[142:143], v[100:101]
	v_fma_f64 v[100:101], v[138:139], s[40:41], -v[130:131]
	v_fma_f64 v[142:143], v[138:139], s[6:7], -v[132:133]
	v_lshrrev_b32_e32 v95, 1, v95
	v_lshl_add_u32 v95, v95, 1, v95
	v_sub_u32_e32 v68, v68, v95
	v_mul_u32_u24_e32 v68, 0x550, v68
	v_lshlrev_b32_e32 v166, 3, v68
	v_add_f64 v[100:101], v[100:101], v[98:99]
	v_add_f64 v[98:99], v[142:143], v[140:141]
	s_and_saveexec_b64 s[34:35], s[2:3]
	s_cbranch_execz .LBB0_14
; %bb.13:
	v_mul_f64 v[167:168], v[71:72], s[40:41]
	s_mov_b32 s53, 0x3fc7851a
	s_mov_b32 s52, s30
	v_mul_f64 v[175:176], v[83:84], s[6:7]
	v_mul_f64 v[177:178], v[93:94], s[46:47]
	v_mul_f64 v[181:182], v[110:111], s[16:17]
	v_mul_f64 v[191:192], v[71:72], s[46:47]
	v_mul_f64 v[189:190], v[124:125], s[28:29]
	v_fma_f64 v[140:141], v[69:70], s[52:53], v[167:168]
	v_fma_f64 v[167:168], v[69:70], s[30:31], v[167:168]
	s_mov_b32 s57, 0x3fe9895b
	v_fma_f64 v[179:180], v[73:74], s[0:1], v[175:176]
	v_fma_f64 v[183:184], v[85:86], s[24:25], v[177:178]
	;; [unrolled: 1-line block ×5, first 2 shown]
	v_add_f64 v[140:141], v[140:141], v[0:1]
	v_add_f64 v[167:168], v[167:168], v[0:1]
	v_fma_f64 v[177:178], v[85:86], s[38:39], v[177:178]
	s_mov_b32 s56, s20
	s_mov_b32 s59, 0x3fefdd0d
	;; [unrolled: 1-line block ×4, first 2 shown]
	v_add_f64 v[195:196], v[195:196], v[0:1]
	v_add_f64 v[179:180], v[179:180], v[140:141]
	;; [unrolled: 1-line block ×3, first 2 shown]
	s_mov_b32 s54, s10
	v_mul_f64 v[187:188], v[134:135], s[26:27]
	v_fma_f64 v[197:198], v[106:107], s[56:57], v[189:190]
	v_fma_f64 v[175:176], v[89:90], s[54:55], v[181:182]
	v_mul_f64 v[181:182], v[110:111], s[28:29]
	v_mul_f64 v[185:186], v[136:137], s[44:45]
	v_add_f64 v[179:180], v[183:184], v[179:180]
	v_mul_f64 v[183:184], v[83:84], s[26:27]
	v_add_f64 v[167:168], v[177:178], v[167:168]
	v_fma_f64 v[177:178], v[114:115], s[18:19], v[187:188]
	v_fma_f64 v[189:190], v[106:107], s[20:21], v[189:190]
	;; [unrolled: 1-line block ×5, first 2 shown]
	v_add_f64 v[179:180], v[193:194], v[179:180]
	v_mul_f64 v[193:194], v[93:94], s[22:23]
	v_fma_f64 v[199:200], v[73:74], s[18:19], v[183:184]
	v_add_f64 v[167:168], v[175:176], v[167:168]
	v_fma_f64 v[175:176], v[120:121], s[42:43], v[185:186]
	v_fma_f64 v[185:186], v[120:121], s[36:37], v[185:186]
	v_mul_f64 v[207:208], v[71:72], s[28:29]
	v_fma_f64 v[183:184], v[73:74], s[48:49], v[183:184]
	v_add_f64 v[179:180], v[197:198], v[179:180]
	v_fma_f64 v[201:202], v[85:86], s[58:59], v[193:194]
	v_add_f64 v[195:196], v[199:200], v[195:196]
	v_mul_f64 v[199:200], v[124:125], s[6:7]
	v_mul_f64 v[197:198], v[138:139], s[22:23]
	v_add_f64 v[167:168], v[189:190], v[167:168]
	v_add_f64 v[191:192], v[191:192], v[0:1]
	v_fma_f64 v[193:194], v[85:86], s[4:5], v[193:194]
	v_add_f64 v[177:178], v[177:178], v[179:180]
	v_fma_f64 v[181:182], v[89:90], s[56:57], v[181:182]
	v_add_f64 v[195:196], v[201:202], v[195:196]
	v_mul_f64 v[201:202], v[134:135], s[40:41]
	v_fma_f64 v[205:206], v[106:107], s[50:51], v[199:200]
	v_fma_f64 v[189:190], v[122:123], s[4:5], v[197:198]
	v_add_f64 v[167:168], v[187:188], v[167:168]
	v_fma_f64 v[187:188], v[122:123], s[58:59], v[197:198]
	v_add_f64 v[175:176], v[175:176], v[177:178]
	v_mul_f64 v[177:178], v[136:137], s[16:17]
	v_add_f64 v[195:196], v[203:204], v[195:196]
	v_fma_f64 v[203:204], v[114:115], s[52:53], v[201:202]
	v_mul_f64 v[197:198], v[138:139], s[44:45]
	v_add_f64 v[183:184], v[183:184], v[191:192]
	v_add_f64 v[167:168], v[185:186], v[167:168]
	v_mul_f64 v[209:210], v[93:94], s[16:17]
	v_add_f64 v[175:176], v[189:190], v[175:176]
	v_mul_f64 v[189:190], v[83:84], s[44:45]
	v_add_f64 v[195:196], v[205:206], v[195:196]
	v_fma_f64 v[205:206], v[120:121], s[10:11], v[177:178]
	v_fma_f64 v[185:186], v[122:123], s[42:43], v[197:198]
	v_add_f64 v[183:184], v[193:194], v[183:184]
	v_add_f64 v[167:168], v[187:188], v[167:168]
	v_mul_f64 v[187:188], v[93:94], s[6:7]
	v_mul_f64 v[193:194], v[110:111], s[46:47]
	v_fma_f64 v[177:178], v[120:121], s[54:55], v[177:178]
	v_add_f64 v[195:196], v[203:204], v[195:196]
	v_fma_f64 v[203:204], v[69:70], s[56:57], v[207:208]
	v_add_f64 v[215:216], v[64:65], v[0:1]
	v_add_f64 v[181:182], v[181:182], v[183:184]
	v_fma_f64 v[183:184], v[122:123], s[36:37], v[197:198]
	v_fma_f64 v[197:198], v[114:115], s[30:31], v[201:202]
	v_mul_f64 v[201:202], v[124:125], s[22:23]
	v_mul_f64 v[169:170], v[71:72], s[6:7]
	v_add_f64 v[191:192], v[205:206], v[195:196]
	v_fma_f64 v[195:196], v[73:74], s[36:37], v[189:190]
	v_fma_f64 v[205:206], v[69:70], s[20:21], v[207:208]
	v_add_f64 v[203:204], v[203:204], v[0:1]
	v_fma_f64 v[189:190], v[73:74], s[42:43], v[189:190]
	v_mul_f64 v[171:172], v[71:72], s[16:17]
	v_mul_f64 v[160:161], v[83:84], s[16:17]
	v_mul_f64 v[173:174], v[83:84], s[22:23]
	v_add_f64 v[185:186], v[185:186], v[191:192]
	v_fma_f64 v[191:192], v[106:107], s[0:1], v[199:200]
	v_fma_f64 v[199:200], v[85:86], s[50:51], v[187:188]
	v_add_f64 v[205:206], v[205:206], v[0:1]
	v_add_f64 v[195:196], v[195:196], v[203:204]
	v_fma_f64 v[203:204], v[89:90], s[24:25], v[193:194]
	v_fma_f64 v[187:188], v[85:86], s[0:1], v[187:188]
	;; [unrolled: 1-line block ×3, first 2 shown]
	v_add_f64 v[75:76], v[75:76], v[169:170]
	v_add_f64 v[181:182], v[191:192], v[181:182]
	v_mul_f64 v[191:192], v[134:135], s[16:17]
	v_add_f64 v[189:190], v[189:190], v[205:206]
	v_add_f64 v[195:196], v[199:200], v[195:196]
	v_fma_f64 v[199:200], v[106:107], s[4:5], v[201:202]
	v_mul_f64 v[205:206], v[71:72], s[44:45]
	v_fma_f64 v[201:202], v[106:107], s[58:59], v[201:202]
	v_add_f64 v[79:80], v[79:80], v[171:172]
	v_add_f64 v[181:182], v[197:198], v[181:182]
	v_fma_f64 v[197:198], v[114:115], s[54:55], v[191:192]
	v_add_f64 v[187:188], v[187:188], v[189:190]
	v_add_f64 v[189:190], v[203:204], v[195:196]
	v_mul_f64 v[195:196], v[136:137], s[40:41]
	v_mul_f64 v[203:204], v[83:84], s[46:47]
	v_fma_f64 v[207:208], v[69:70], s[42:43], v[205:206]
	v_fma_f64 v[191:192], v[114:115], s[10:11], v[191:192]
	v_add_f64 v[177:178], v[177:178], v[181:182]
	v_mul_f64 v[158:159], v[93:94], s[26:27]
	v_add_f64 v[187:188], v[193:194], v[187:188]
	v_add_f64 v[189:190], v[199:200], v[189:190]
	v_mul_f64 v[193:194], v[138:139], s[26:27]
	v_fma_f64 v[199:200], v[120:121], s[52:53], v[195:196]
	v_fma_f64 v[211:212], v[73:74], s[38:39], v[203:204]
	v_add_f64 v[207:208], v[207:208], v[0:1]
	v_fma_f64 v[195:196], v[120:121], s[30:31], v[195:196]
	v_add_f64 v[177:178], v[183:184], v[177:178]
	v_add_f64 v[187:188], v[201:202], v[187:188]
	;; [unrolled: 1-line block ×3, first 2 shown]
	v_fma_f64 v[181:182], v[122:123], s[18:19], v[193:194]
	v_mul_f64 v[197:198], v[110:111], s[26:27]
	v_fma_f64 v[201:202], v[85:86], s[10:11], v[209:210]
	v_add_f64 v[207:208], v[211:212], v[207:208]
	v_fma_f64 v[183:184], v[69:70], s[36:37], v[205:206]
	v_fma_f64 v[193:194], v[122:123], s[48:49], v[193:194]
	v_add_f64 v[187:188], v[191:192], v[187:188]
	v_add_f64 v[189:190], v[199:200], v[189:190]
	v_mul_f64 v[191:192], v[124:125], s[40:41]
	v_fma_f64 v[199:200], v[89:90], s[48:49], v[197:198]
	v_mul_f64 v[205:206], v[71:72], s[22:23]
	v_add_f64 v[201:202], v[201:202], v[207:208]
	v_add_f64 v[183:184], v[183:184], v[0:1]
	v_fma_f64 v[197:198], v[89:90], s[18:19], v[197:198]
	v_add_f64 v[187:188], v[195:196], v[187:188]
	v_add_f64 v[181:182], v[181:182], v[189:190]
	v_fma_f64 v[189:190], v[73:74], s[24:25], v[203:204]
	v_mul_f64 v[195:196], v[134:135], s[22:23]
	v_fma_f64 v[203:204], v[106:107], s[52:53], v[191:192]
	v_add_f64 v[199:200], v[199:200], v[201:202]
	v_fma_f64 v[211:212], v[69:70], s[58:59], v[205:206]
	v_fma_f64 v[205:206], v[69:70], s[4:5], v[205:206]
	v_add_f64 v[187:188], v[193:194], v[187:188]
	v_fma_f64 v[193:194], v[85:86], s[54:55], v[209:210]
	v_add_f64 v[183:184], v[189:190], v[183:184]
	v_fma_f64 v[207:208], v[114:115], s[4:5], v[195:196]
	v_mul_f64 v[209:210], v[83:84], s[40:41]
	v_add_f64 v[199:200], v[203:204], v[199:200]
	v_fma_f64 v[191:192], v[106:107], s[30:31], v[191:192]
	v_mul_f64 v[189:190], v[136:137], s[6:7]
	v_add_f64 v[205:206], v[205:206], v[0:1]
	v_fma_f64 v[195:196], v[114:115], s[58:59], v[195:196]
	v_add_f64 v[183:184], v[193:194], v[183:184]
	v_mul_f64 v[201:202], v[138:139], s[28:29]
	v_fma_f64 v[213:214], v[73:74], s[52:53], v[209:210]
	v_add_f64 v[199:200], v[207:208], v[199:200]
	v_mul_f64 v[207:208], v[93:94], s[44:45]
	v_fma_f64 v[193:194], v[120:121], s[50:51], v[189:190]
	v_fma_f64 v[189:190], v[120:121], s[0:1], v[189:190]
	v_add_f64 v[211:212], v[211:212], v[0:1]
	v_add_f64 v[183:184], v[197:198], v[183:184]
	v_fma_f64 v[197:198], v[73:74], s[30:31], v[209:210]
	v_mul_f64 v[71:72], v[71:72], s[26:27]
	v_mul_f64 v[209:210], v[110:111], s[6:7]
	v_fma_f64 v[217:218], v[85:86], s[36:37], v[207:208]
	v_mul_f64 v[83:84], v[83:84], s[28:29]
	v_mul_f64 v[162:163], v[93:94], s[28:29]
	v_add_f64 v[211:212], v[213:214], v[211:212]
	v_add_f64 v[183:184], v[191:192], v[183:184]
	v_fma_f64 v[191:192], v[85:86], s[42:43], v[207:208]
	v_add_f64 v[207:208], v[60:61], v[215:216]
	v_add_f64 v[197:198], v[197:198], v[205:206]
	v_fma_f64 v[215:216], v[69:70], s[18:19], v[71:72]
	v_mul_f64 v[205:206], v[124:125], s[26:27]
	v_fma_f64 v[213:214], v[89:90], s[0:1], v[209:210]
	v_add_f64 v[211:212], v[217:218], v[211:212]
	v_add_f64 v[183:184], v[195:196], v[183:184]
	v_fma_f64 v[68:69], v[69:70], s[48:49], v[71:72]
	v_add_f64 v[207:208], v[56:57], v[207:208]
	v_add_f64 v[191:192], v[191:192], v[197:198]
	v_fma_f64 v[197:198], v[122:123], s[20:21], v[201:202]
	v_mul_f64 v[93:94], v[93:94], s[40:41]
	v_fma_f64 v[219:220], v[73:74], s[56:57], v[83:84]
	v_fma_f64 v[70:71], v[73:74], s[20:21], v[83:84]
	v_add_f64 v[183:184], v[189:190], v[183:184]
	v_add_f64 v[77:78], v[77:78], v[160:161]
	;; [unrolled: 1-line block ×7, first 2 shown]
	v_fma_f64 v[203:204], v[122:123], s[56:57], v[201:202]
	v_add_f64 v[183:184], v[197:198], v[183:184]
	v_fma_f64 v[195:196], v[89:90], s[50:51], v[209:210]
	v_add_f64 v[197:198], v[48:49], v[207:208]
	v_mul_f64 v[201:202], v[134:135], s[46:47]
	v_fma_f64 v[209:210], v[106:107], s[48:49], v[205:206]
	v_add_f64 v[211:212], v[213:214], v[211:212]
	v_add_f64 v[0:1], v[68:69], v[0:1]
	v_mul_f64 v[154:155], v[110:111], s[22:23]
	v_fma_f64 v[217:218], v[85:86], s[30:31], v[93:94]
	v_fma_f64 v[68:69], v[85:86], s[52:53], v[93:94]
	v_add_f64 v[197:198], v[44:45], v[197:198]
	v_add_f64 v[85:86], v[87:88], v[158:159]
	;; [unrolled: 1-line block ×3, first 2 shown]
	v_mul_f64 v[156:157], v[110:111], s[40:41]
	v_mul_f64 v[110:111], v[110:111], s[44:45]
	v_add_f64 v[70:71], v[70:71], v[72:73]
	v_add_f64 v[72:73], v[91:92], v[162:163]
	;; [unrolled: 1-line block ×4, first 2 shown]
	v_fma_f64 v[213:214], v[114:115], s[24:25], v[201:202]
	v_add_f64 v[209:210], v[209:210], v[211:212]
	v_add_f64 v[0:1], v[219:220], v[0:1]
	v_mul_f64 v[150:151], v[124:125], s[44:45]
	v_add_f64 v[74:75], v[85:86], v[74:75]
	v_mul_f64 v[152:153], v[124:125], s[46:47]
	v_mul_f64 v[124:125], v[124:125], s[16:17]
	v_add_f64 v[169:170], v[36:37], v[197:198]
	v_fma_f64 v[80:81], v[89:90], s[42:43], v[110:111]
	v_add_f64 v[68:69], v[68:69], v[70:71]
	v_add_f64 v[70:71], v[104:105], v[156:157]
	;; [unrolled: 1-line block ×4, first 2 shown]
	v_fma_f64 v[213:214], v[89:90], s[36:37], v[110:111]
	v_add_f64 v[0:1], v[217:218], v[0:1]
	v_add_f64 v[83:84], v[32:33], v[169:170]
	v_mul_f64 v[146:147], v[134:135], s[28:29]
	v_mul_f64 v[148:149], v[134:135], s[44:45]
	;; [unrolled: 1-line block ×3, first 2 shown]
	v_fma_f64 v[78:79], v[106:107], s[54:55], v[124:125]
	v_add_f64 v[68:69], v[80:81], v[68:69]
	v_add_f64 v[80:81], v[112:113], v[152:153]
	;; [unrolled: 1-line block ×6, first 2 shown]
	v_fma_f64 v[189:190], v[106:107], s[18:19], v[205:206]
	v_add_f64 v[191:192], v[195:196], v[191:192]
	v_fma_f64 v[211:212], v[106:107], s[10:11], v[124:125]
	v_add_f64 v[0:1], v[213:214], v[0:1]
	v_mul_f64 v[142:143], v[136:137], s[46:47]
	v_add_f64 v[76:77], v[24:25], v[76:77]
	v_add_f64 v[74:75], v[82:83], v[74:75]
	;; [unrolled: 1-line block ×3, first 2 shown]
	v_mul_f64 v[144:145], v[136:137], s[26:27]
	v_mul_f64 v[205:206], v[136:137], s[28:29]
	;; [unrolled: 1-line block ×3, first 2 shown]
	v_fma_f64 v[72:73], v[114:115], s[0:1], v[134:135]
	v_add_f64 v[68:69], v[78:79], v[68:69]
	v_add_f64 v[76:77], v[20:21], v[76:77]
	;; [unrolled: 1-line block ×6, first 2 shown]
	v_fma_f64 v[199:200], v[114:115], s[38:39], v[201:202]
	v_add_f64 v[189:190], v[189:190], v[191:192]
	v_fma_f64 v[209:210], v[114:115], s[50:51], v[134:135]
	v_add_f64 v[76:77], v[12:13], v[76:77]
	v_add_f64 v[0:1], v[211:212], v[0:1]
	v_mul_f64 v[140:141], v[138:139], s[40:41]
	v_add_f64 v[84:85], v[126:127], v[142:143]
	v_add_f64 v[74:75], v[82:83], v[74:75]
	v_mul_f64 v[179:180], v[138:139], s[6:7]
	v_mul_f64 v[195:196], v[138:139], s[16:17]
	;; [unrolled: 1-line block ×3, first 2 shown]
	v_add_f64 v[76:77], v[4:5], v[76:77]
	v_fma_f64 v[80:81], v[120:121], s[4:5], v[136:137]
	v_add_f64 v[68:69], v[72:73], v[68:69]
	v_add_f64 v[72:73], v[128:129], v[144:145]
	;; [unrolled: 1-line block ×3, first 2 shown]
	v_fma_f64 v[201:202], v[120:121], s[20:21], v[205:206]
	v_fma_f64 v[205:206], v[120:121], s[56:57], v[205:206]
	v_add_f64 v[189:190], v[199:200], v[189:190]
	v_fma_f64 v[199:200], v[120:121], s[58:59], v[136:137]
	v_add_f64 v[0:1], v[209:210], v[0:1]
	v_add_f64 v[82:83], v[130:131], v[140:141]
	;; [unrolled: 1-line block ×4, first 2 shown]
	v_fma_f64 v[78:79], v[122:123], s[38:39], v[138:139]
	v_add_f64 v[68:69], v[80:81], v[68:69]
	v_add_f64 v[80:81], v[132:133], v[179:180]
	;; [unrolled: 1-line block ×3, first 2 shown]
	v_fma_f64 v[191:192], v[122:123], s[10:11], v[195:196]
	v_fma_f64 v[195:196], v[122:123], s[54:55], v[195:196]
	v_add_f64 v[72:73], v[205:206], v[189:190]
	v_add_f64 v[84:85], v[201:202], v[207:208]
	v_fma_f64 v[86:87], v[122:123], s[24:25], v[138:139]
	v_add_f64 v[0:1], v[199:200], v[0:1]
	v_add_f64 v[74:75], v[82:83], v[74:75]
	;; [unrolled: 1-line block ×8, first 2 shown]
	v_mul_u32_u24_e32 v82, 0x88, v165
	v_add_f64 v[0:1], v[86:87], v[0:1]
	v_add3_u32 v82, 0, v82, v166
	ds_write2_b64 v82, v[76:77], v[74:75] offset1:1
	ds_write2_b64 v82, v[70:71], v[68:69] offset0:2 offset1:3
	ds_write2_b64 v82, v[72:73], v[183:184] offset0:4 offset1:5
	;; [unrolled: 1-line block ×7, first 2 shown]
	ds_write_b64 v82, v[100:101] offset:128
.LBB0_14:
	s_or_b64 exec, exec, s[34:35]
	v_lshlrev_b32_e32 v0, 3, v165
	v_add_u32_e32 v148, 0, v0
	v_add_u32_e32 v146, v148, v166
	v_add3_u32 v147, 0, v166, v0
	v_add_u32_e32 v0, 0x800, v146
	s_waitcnt lgkmcnt(0)
	s_barrier
	ds_read2_b64 v[88:91], v0 offset0:16 offset1:101
	v_add_u32_e32 v0, 0xc00, v146
	ds_read2_b64 v[72:75], v0 offset0:58 offset1:160
	v_add_u32_e32 v0, 0x1800, v146
	;; [unrolled: 2-line block ×3, first 2 shown]
	ds_read_b64 v[102:103], v147
	ds_read2_b64 v[76:79], v0 offset0:90 offset1:192
	ds_read2_b64 v[68:71], v146 offset0:85 offset1:170
	v_add_u32_e32 v0, 0x1000, v146
	ds_read2_b64 v[84:87], v0 offset0:117 offset1:202
	v_add_u32_e32 v0, 0x2000, v146
	ds_read2_b64 v[80:83], v0 offset0:149 offset1:234
	v_cmp_gt_u32_e64 s[0:1], 17, v165
                                        ; implicit-def: $vgpr104_vgpr105
                                        ; implicit-def: $vgpr106_vgpr107
                                        ; implicit-def: $vgpr108_vgpr109
	s_and_saveexec_b64 s[4:5], s[0:1]
	s_cbranch_execz .LBB0_16
; %bb.15:
	ds_read_b64 v[98:99], v146 offset:2040
	ds_read_b64 v[100:101], v146 offset:4216
	;; [unrolled: 1-line block ×5, first 2 shown]
.LBB0_16:
	s_or_b64 exec, exec, s[4:5]
	v_add_f64 v[144:145], v[64:65], -v[8:9]
	s_mov_b32 s20, 0x5d8e7cdc
	s_mov_b32 s21, 0xbfd71e95
	v_add_f64 v[122:123], v[66:67], v[10:11]
	v_add_f64 v[142:143], v[60:61], -v[16:17]
	s_mov_b32 s16, 0x370991
	s_mov_b32 s34, 0x2a9d6da3
	s_mov_b32 s17, 0x3fedd6d0
	v_mul_f64 v[132:133], v[144:145], s[20:21]
	s_mov_b32 s35, 0xbfe58eea
	v_add_f64 v[126:127], v[62:63], v[18:19]
	v_mul_f64 v[134:135], v[144:145], s[34:35]
	v_mul_f64 v[130:131], v[142:143], s[34:35]
	v_add_f64 v[116:117], v[56:57], -v[4:5]
	s_mov_b32 s6, 0x75d4884
	s_mov_b32 s30, 0xeb564b22
	v_fma_f64 v[0:1], v[122:123], s[16:17], v[132:133]
	s_mov_b32 s46, 0x7c9e640b
	s_mov_b32 s7, 0x3fe7a5f6
	;; [unrolled: 1-line block ×4, first 2 shown]
	v_add_f64 v[114:115], v[58:59], v[6:7]
	v_mul_f64 v[138:139], v[142:143], s[30:31]
	v_fma_f64 v[4:5], v[122:123], s[6:7], v[134:135]
	v_fma_f64 v[8:9], v[126:127], s[6:7], v[130:131]
	v_add_f64 v[0:1], v[0:1], v[2:3]
	v_mul_f64 v[136:137], v[116:117], s[46:47]
	v_add_f64 v[112:113], v[52:53], -v[12:13]
	s_mov_b32 s4, 0x3259b75e
	s_mov_b32 s10, 0x2b2883cd
	;; [unrolled: 1-line block ×6, first 2 shown]
	v_fma_f64 v[12:13], v[126:127], s[4:5], v[138:139]
	v_add_f64 v[4:5], v[4:5], v[2:3]
	v_add_f64 v[0:1], v[8:9], v[0:1]
	v_fma_f64 v[8:9], v[114:115], s[10:11], v[136:137]
	v_mul_f64 v[140:141], v[116:117], s[22:23]
	v_add_f64 v[110:111], v[54:55], v[14:15]
	v_mul_f64 v[124:125], v[112:113], s[30:31]
	s_mov_b32 s18, 0x6ed5f1bb
	s_mov_b32 s40, 0xacd6c6b4
	s_mov_b32 s19, 0xbfe348c8
	s_mov_b32 s41, 0xbfc7851a
	v_add_f64 v[4:5], v[12:13], v[4:5]
	v_fma_f64 v[12:13], v[114:115], s[18:19], v[140:141]
	v_add_f64 v[0:1], v[8:9], v[0:1]
	v_fma_f64 v[8:9], v[110:111], s[4:5], v[124:125]
	v_mul_f64 v[128:129], v[112:113], s[40:41]
	v_add_f64 v[56:57], v[48:49], -v[20:21]
	s_mov_b32 s42, 0x7faef3
	s_mov_b32 s24, 0x923c349f
	;; [unrolled: 1-line block ×6, first 2 shown]
	v_add_f64 v[4:5], v[12:13], v[4:5]
	v_add_f64 v[0:1], v[8:9], v[0:1]
	v_fma_f64 v[8:9], v[110:111], s[42:43], v[128:129]
	v_add_f64 v[52:53], v[50:51], v[22:23]
	v_mul_f64 v[118:119], v[56:57], s[24:25]
	v_mul_f64 v[120:121], v[56:57], s[52:53]
	v_add_f64 v[44:45], v[44:45], -v[24:25]
	s_mov_b32 s28, 0xc61f0d01
	s_mov_b32 s36, 0x910ea3b9
	;; [unrolled: 1-line block ×6, first 2 shown]
	v_add_f64 v[4:5], v[8:9], v[4:5]
	v_fma_f64 v[8:9], v[52:53], s[28:29], v[118:119]
	v_fma_f64 v[16:17], v[52:53], s[36:37], v[120:121]
	v_add_f64 v[24:25], v[26:27], v[46:47]
	v_mul_f64 v[64:65], v[44:45], s[22:23]
	v_mul_f64 v[60:61], v[44:45], s[48:49]
	v_add_f64 v[12:13], v[40:41], -v[28:29]
	s_mov_b32 s45, 0xbfe0d888
	s_mov_b32 s44, s52
	;; [unrolled: 1-line block ×4, first 2 shown]
	v_add_f64 v[0:1], v[8:9], v[0:1]
	v_add_f64 v[16:17], v[16:17], v[4:5]
	v_fma_f64 v[20:21], v[24:25], s[18:19], v[64:65]
	v_fma_f64 v[28:29], v[24:25], s[28:29], v[60:61]
	v_add_f64 v[8:9], v[42:43], v[30:31]
	v_mul_f64 v[40:41], v[12:13], s[44:45]
	v_mul_f64 v[48:49], v[12:13], s[38:39]
	v_add_f64 v[4:5], v[36:37], -v[32:33]
	s_mov_b32 s50, s20
	s_waitcnt lgkmcnt(0)
	v_add_f64 v[32:33], v[20:21], v[0:1]
	v_add_f64 v[28:29], v[28:29], v[16:17]
	;; [unrolled: 1-line block ×3, first 2 shown]
	v_fma_f64 v[36:37], v[8:9], s[36:37], v[40:41]
	v_fma_f64 v[149:150], v[8:9], s[10:11], v[48:49]
	v_mul_f64 v[16:17], v[4:5], s[40:41]
	v_mul_f64 v[20:21], v[4:5], s[50:51]
	s_barrier
	v_add_f64 v[32:33], v[36:37], v[32:33]
	v_add_f64 v[28:29], v[149:150], v[28:29]
	v_fma_f64 v[36:37], v[0:1], s[42:43], v[16:17]
	v_fma_f64 v[149:150], v[0:1], s[16:17], v[20:21]
	v_add_f64 v[32:33], v[36:37], v[32:33]
	v_add_f64 v[28:29], v[149:150], v[28:29]
	s_and_saveexec_b64 s[26:27], s[2:3]
	s_cbranch_execz .LBB0_18
; %bb.17:
	v_add_f64 v[36:37], v[66:67], v[2:3]
	v_mul_f64 v[66:67], v[122:123], s[16:17]
	v_mul_f64 v[149:150], v[122:123], s[6:7]
	;; [unrolled: 1-line block ×7, first 2 shown]
	v_add_f64 v[36:37], v[62:63], v[36:37]
	v_mul_f64 v[185:186], v[144:145], s[22:23]
	v_mul_f64 v[187:188], v[144:145], s[44:45]
	v_add_f64 v[66:67], v[66:67], -v[132:133]
	v_add_f64 v[132:133], v[149:150], -v[134:135]
	v_fma_f64 v[134:135], v[122:123], s[10:11], -v[179:180]
	v_mul_f64 v[191:192], v[142:143], s[52:53]
	s_mov_b32 s53, 0x3fc7851a
	v_add_f64 v[36:37], v[58:59], v[36:37]
	s_mov_b32 s52, s40
	v_mul_f64 v[155:156], v[114:115], s[10:11]
	v_mul_f64 v[157:158], v[114:115], s[18:19]
	;; [unrolled: 1-line block ×5, first 2 shown]
	v_fma_f64 v[149:150], v[122:123], s[10:11], v[179:180]
	v_add_f64 v[36:37], v[54:55], v[36:37]
	v_mul_f64 v[54:55], v[144:145], s[40:41]
	v_mul_f64 v[144:145], v[142:143], s[22:23]
	;; [unrolled: 1-line block ×3, first 2 shown]
	v_fma_f64 v[179:180], v[122:123], s[4:5], -v[181:182]
	v_fma_f64 v[203:204], v[122:123], s[18:19], -v[185:186]
	v_fma_f64 v[185:186], v[122:123], s[18:19], v[185:186]
	v_fma_f64 v[205:206], v[122:123], s[36:37], -v[187:188]
	v_add_f64 v[36:37], v[50:51], v[36:37]
	v_fma_f64 v[187:188], v[122:123], s[36:37], v[187:188]
	v_add_f64 v[66:67], v[66:67], v[2:3]
	v_add_f64 v[134:135], v[134:135], v[2:3]
	s_mov_b32 s3, 0x3fe58eea
	s_mov_b32 s2, s34
	v_mul_f64 v[197:198], v[116:117], s[20:21]
	v_mul_f64 v[201:202], v[116:117], s[2:3]
	v_add_f64 v[36:37], v[46:47], v[36:37]
	v_mul_f64 v[46:47], v[116:117], s[52:53]
	v_add_f64 v[136:137], v[155:156], -v[136:137]
	v_add_f64 v[140:141], v[157:158], -v[140:141]
	v_add_f64 v[157:158], v[179:180], v[2:3]
	v_mul_f64 v[50:51], v[116:117], s[48:49]
	v_mul_f64 v[199:200], v[116:117], s[30:31]
	v_add_f64 v[132:133], v[132:133], v[2:3]
	v_add_f64 v[36:37], v[42:43], v[36:37]
	v_fma_f64 v[42:43], v[122:123], s[4:5], v[181:182]
	v_fma_f64 v[181:182], v[122:123], s[28:29], -v[183:184]
	v_fma_f64 v[183:184], v[122:123], s[28:29], v[183:184]
	v_fma_f64 v[155:156], v[114:115], s[42:43], -v[46:47]
	v_add_f64 v[149:150], v[149:150], v[2:3]
	v_mul_f64 v[116:117], v[116:117], s[44:45]
	v_mul_f64 v[159:160], v[110:111], s[4:5]
	v_add_f64 v[36:37], v[38:39], v[36:37]
	v_fma_f64 v[38:39], v[122:123], s[42:43], -v[54:55]
	v_fma_f64 v[54:55], v[122:123], s[42:43], v[54:55]
	v_add_f64 v[122:123], v[151:152], -v[130:131]
	v_add_f64 v[130:131], v[153:154], -v[138:139]
	v_fma_f64 v[138:139], v[126:127], s[18:19], -v[144:145]
	v_fma_f64 v[151:152], v[126:127], s[42:43], -v[189:190]
	;; [unrolled: 1-line block ×3, first 2 shown]
	v_add_f64 v[34:35], v[34:35], v[36:37]
	v_fma_f64 v[36:37], v[126:127], s[42:43], v[189:190]
	v_fma_f64 v[189:190], v[126:127], s[36:37], v[191:192]
	v_fma_f64 v[191:192], v[126:127], s[28:29], -v[193:194]
	v_add_f64 v[179:180], v[183:184], v[2:3]
	v_fma_f64 v[144:145], v[126:127], s[18:19], v[144:145]
	v_mul_f64 v[62:63], v[110:111], s[42:43]
	v_fma_f64 v[193:194], v[126:127], s[28:29], v[193:194]
	v_add_f64 v[30:31], v[30:31], v[34:35]
	v_fma_f64 v[34:35], v[126:127], s[16:17], -v[142:143]
	v_fma_f64 v[207:208], v[126:127], s[10:11], -v[195:196]
	v_fma_f64 v[195:196], v[126:127], s[10:11], v[195:196]
	v_fma_f64 v[126:127], v[126:127], s[16:17], v[142:143]
	v_fma_f64 v[142:143], v[114:115], s[28:29], -v[50:51]
	v_fma_f64 v[50:51], v[114:115], s[28:29], v[50:51]
	v_add_f64 v[183:184], v[185:186], v[2:3]
	v_add_f64 v[26:27], v[26:27], v[30:31]
	v_fma_f64 v[30:31], v[114:115], s[42:43], v[46:47]
	v_fma_f64 v[46:47], v[114:115], s[6:7], -v[201:202]
	v_add_f64 v[185:186], v[205:206], v[2:3]
	v_add_f64 v[187:188], v[187:188], v[2:3]
	v_add_f64 v[62:63], v[62:63], -v[128:129]
	v_mul_f64 v[161:162], v[52:53], s[28:29]
	v_mul_f64 v[167:168], v[52:53], s[36:37]
	v_add_f64 v[22:23], v[22:23], v[26:27]
	v_add_f64 v[26:27], v[42:43], v[2:3]
	;; [unrolled: 1-line block ×4, first 2 shown]
	v_mul_f64 v[169:170], v[24:25], s[18:19]
	v_mul_f64 v[171:172], v[24:25], s[28:29]
	;; [unrolled: 1-line block ×4, first 2 shown]
	v_add_f64 v[14:15], v[14:15], v[22:23]
	v_add_f64 v[22:23], v[38:39], v[2:3]
	v_add_f64 v[38:39], v[122:123], v[66:67]
	v_add_f64 v[66:67], v[138:139], v[134:135]
	v_add_f64 v[2:3], v[54:55], v[2:3]
	v_add_f64 v[54:55], v[130:131], v[132:133]
	v_add_f64 v[122:123], v[144:145], v[149:150]
	v_add_f64 v[130:131], v[151:152], v[157:158]
	v_add_f64 v[6:7], v[6:7], v[14:15]
	v_add_f64 v[14:15], v[36:37], v[26:27]
	v_add_f64 v[26:27], v[153:154], v[42:43]
	v_add_f64 v[36:37], v[189:190], v[179:180]
	v_add_f64 v[42:43], v[191:192], v[181:182]
	v_add_f64 v[2:3], v[126:127], v[2:3]
	v_add_f64 v[30:31], v[30:31], v[122:123]
	v_fma_f64 v[122:123], v[114:115], s[4:5], -v[199:200]
	v_add_f64 v[6:7], v[18:19], v[6:7]
	v_add_f64 v[18:19], v[34:35], v[22:23]
	;; [unrolled: 1-line block ×4, first 2 shown]
	v_fma_f64 v[66:67], v[114:115], s[16:17], -v[197:198]
	v_add_f64 v[34:35], v[140:141], v[54:55]
	v_add_f64 v[14:15], v[50:51], v[14:15]
	v_fma_f64 v[50:51], v[114:115], s[16:17], v[197:198]
	v_add_f64 v[6:7], v[10:11], v[6:7]
	v_fma_f64 v[10:11], v[114:115], s[6:7], v[201:202]
	;; [unrolled: 2-line block ×3, first 2 shown]
	v_add_f64 v[132:133], v[193:194], v[183:184]
	v_add_f64 v[54:55], v[142:143], v[130:131]
	;; [unrolled: 1-line block ×7, first 2 shown]
	v_mul_f64 v[42:43], v[112:113], s[48:49]
	v_fma_f64 v[66:67], v[114:115], s[36:37], -v[116:117]
	v_fma_f64 v[114:115], v[114:115], s[36:37], v[116:117]
	v_add_f64 v[116:117], v[159:160], -v[124:125]
	s_mov_b32 s49, 0x3fe9895b
	s_mov_b32 s48, s22
	v_add_f64 v[50:51], v[50:51], v[132:133]
	v_add_f64 v[46:47], v[46:47], v[138:139]
	v_fma_f64 v[124:125], v[110:111], s[28:29], -v[42:43]
	v_fma_f64 v[42:43], v[110:111], s[28:29], v[42:43]
	v_add_f64 v[18:19], v[66:67], v[18:19]
	v_mul_f64 v[66:67], v[112:113], s[50:51]
	v_add_f64 v[2:3], v[114:115], v[2:3]
	v_mul_f64 v[114:115], v[112:113], s[46:47]
	v_add_f64 v[22:23], v[116:117], v[22:23]
	v_add_f64 v[122:123], v[122:123], v[134:135]
	;; [unrolled: 1-line block ×4, first 2 shown]
	v_mul_f64 v[42:43], v[112:113], s[44:45]
	v_fma_f64 v[62:63], v[110:111], s[16:17], -v[66:67]
	v_fma_f64 v[66:67], v[110:111], s[16:17], v[66:67]
	v_fma_f64 v[116:117], v[110:111], s[10:11], -v[114:115]
	v_fma_f64 v[114:115], v[110:111], s[10:11], v[114:115]
	v_mul_f64 v[124:125], v[112:113], s[48:49]
	v_add_f64 v[60:61], v[171:172], -v[60:61]
	v_add_f64 v[40:41], v[173:174], -v[40:41]
	v_fma_f64 v[126:127], v[110:111], s[36:37], -v[42:43]
	v_add_f64 v[54:55], v[62:63], v[54:55]
	v_fma_f64 v[42:43], v[110:111], s[36:37], v[42:43]
	v_mul_f64 v[62:63], v[112:113], s[2:3]
	v_add_f64 v[14:15], v[66:67], v[14:15]
	v_add_f64 v[10:11], v[114:115], v[10:11]
	v_fma_f64 v[66:67], v[110:111], s[18:19], -v[124:125]
	v_fma_f64 v[112:113], v[110:111], s[18:19], v[124:125]
	v_mul_f64 v[114:115], v[56:57], s[2:3]
	v_add_f64 v[26:27], v[116:117], v[26:27]
	v_add_f64 v[42:43], v[42:43], v[50:51]
	v_fma_f64 v[50:51], v[110:111], s[6:7], -v[62:63]
	v_fma_f64 v[62:63], v[110:111], s[6:7], v[62:63]
	v_add_f64 v[110:111], v[161:162], -v[118:119]
	v_add_f64 v[116:117], v[167:168], -v[120:121]
	v_add_f64 v[46:47], v[112:113], v[46:47]
	v_mul_f64 v[112:113], v[56:57], s[46:47]
	s_mov_b32 s47, 0x3fefdd0d
	s_mov_b32 s46, s30
	v_add_f64 v[18:19], v[50:51], v[18:19]
	v_add_f64 v[2:3], v[62:63], v[2:3]
	;; [unrolled: 1-line block ×3, first 2 shown]
	v_fma_f64 v[50:51], v[52:53], s[6:7], -v[114:115]
	v_fma_f64 v[62:63], v[52:53], s[6:7], v[114:115]
	v_mul_f64 v[110:111], v[56:57], s[40:41]
	v_add_f64 v[34:35], v[116:117], v[34:35]
	v_fma_f64 v[114:115], v[52:53], s[10:11], -v[112:113]
	v_mul_f64 v[116:117], v[56:57], s[46:47]
	v_add_f64 v[66:67], v[66:67], v[122:123]
	v_add_f64 v[36:37], v[126:127], v[36:37]
	;; [unrolled: 1-line block ×4, first 2 shown]
	v_fma_f64 v[50:51], v[52:53], s[10:11], v[112:113]
	v_fma_f64 v[62:63], v[52:53], s[42:43], -v[110:111]
	v_mul_f64 v[112:113], v[56:57], s[20:21]
	v_fma_f64 v[110:111], v[52:53], s[42:43], v[110:111]
	v_mul_f64 v[56:57], v[56:57], s[22:23]
	v_add_f64 v[54:55], v[114:115], v[54:55]
	v_fma_f64 v[114:115], v[52:53], s[4:5], -v[116:117]
	v_fma_f64 v[116:117], v[52:53], s[4:5], v[116:117]
	v_add_f64 v[14:15], v[50:51], v[14:15]
	v_add_f64 v[26:27], v[62:63], v[26:27]
	v_fma_f64 v[50:51], v[52:53], s[16:17], -v[112:113]
	v_add_f64 v[10:11], v[110:111], v[10:11]
	v_fma_f64 v[62:63], v[52:53], s[16:17], v[112:113]
	v_fma_f64 v[110:111], v[52:53], s[18:19], -v[56:57]
	v_mul_f64 v[112:113], v[44:45], s[20:21]
	v_fma_f64 v[52:53], v[52:53], s[18:19], v[56:57]
	v_add_f64 v[56:57], v[169:170], -v[64:65]
	v_add_f64 v[34:35], v[60:61], v[34:35]
	v_add_f64 v[50:51], v[50:51], v[66:67]
	v_mul_f64 v[60:61], v[44:45], s[34:35]
	v_add_f64 v[46:47], v[62:63], v[46:47]
	v_mul_f64 v[62:63], v[44:45], s[44:45]
	v_fma_f64 v[64:65], v[24:25], s[16:17], -v[112:113]
	v_add_f64 v[2:3], v[52:53], v[2:3]
	v_fma_f64 v[52:53], v[24:25], s[16:17], v[112:113]
	v_add_f64 v[22:23], v[56:57], v[22:23]
	v_mul_f64 v[56:57], v[44:45], s[46:47]
	v_add_f64 v[18:19], v[110:111], v[18:19]
	v_add_f64 v[36:37], v[114:115], v[36:37]
	v_fma_f64 v[66:67], v[24:25], s[36:37], -v[62:63]
	v_add_f64 v[38:39], v[64:65], v[38:39]
	v_fma_f64 v[62:63], v[24:25], s[36:37], v[62:63]
	v_add_f64 v[30:31], v[52:53], v[30:31]
	v_mul_f64 v[52:53], v[44:45], s[40:41]
	v_fma_f64 v[64:65], v[24:25], s[4:5], -v[56:57]
	v_fma_f64 v[56:57], v[24:25], s[4:5], v[56:57]
	v_mul_f64 v[44:45], v[44:45], s[38:39]
	v_add_f64 v[54:55], v[66:67], v[54:55]
	v_fma_f64 v[66:67], v[24:25], s[6:7], -v[60:61]
	v_add_f64 v[14:15], v[62:63], v[14:15]
	v_fma_f64 v[60:61], v[24:25], s[6:7], v[60:61]
	v_fma_f64 v[62:63], v[24:25], s[42:43], -v[52:53]
	v_add_f64 v[26:27], v[64:65], v[26:27]
	v_fma_f64 v[52:53], v[24:25], s[42:43], v[52:53]
	v_add_f64 v[10:11], v[56:57], v[10:11]
	v_fma_f64 v[56:57], v[24:25], s[10:11], -v[44:45]
	v_mul_f64 v[64:65], v[12:13], s[30:31]
	v_fma_f64 v[24:25], v[24:25], s[10:11], v[44:45]
	v_add_f64 v[42:43], v[116:117], v[42:43]
	v_add_f64 v[22:23], v[40:41], v[22:23]
	v_mul_f64 v[40:41], v[12:13], s[40:41]
	v_add_f64 v[44:45], v[52:53], v[46:47]
	v_add_f64 v[46:47], v[175:176], -v[48:49]
	v_add_f64 v[18:19], v[56:57], v[18:19]
	v_fma_f64 v[48:49], v[8:9], s[4:5], -v[64:65]
	v_mul_f64 v[52:53], v[12:13], s[48:49]
	v_fma_f64 v[56:57], v[8:9], s[4:5], v[64:65]
	v_add_f64 v[2:3], v[24:25], v[2:3]
	v_mul_f64 v[24:25], v[12:13], s[20:21]
	v_add_f64 v[36:37], v[66:67], v[36:37]
	v_add_f64 v[42:43], v[60:61], v[42:43]
	;; [unrolled: 1-line block ×4, first 2 shown]
	v_fma_f64 v[48:49], v[8:9], s[18:19], v[52:53]
	v_add_f64 v[30:31], v[56:57], v[30:31]
	v_mul_f64 v[56:57], v[12:13], s[2:3]
	v_fma_f64 v[46:47], v[8:9], s[18:19], -v[52:53]
	v_fma_f64 v[52:53], v[8:9], s[16:17], -v[24:25]
	v_fma_f64 v[24:25], v[8:9], s[16:17], v[24:25]
	v_fma_f64 v[60:61], v[8:9], s[42:43], -v[40:41]
	v_fma_f64 v[40:41], v[8:9], s[42:43], v[40:41]
	v_mul_f64 v[12:13], v[12:13], s[24:25]
	v_mul_f64 v[177:178], v[0:1], s[16:17]
	v_add_f64 v[50:51], v[62:63], v[50:51]
	v_add_f64 v[14:15], v[48:49], v[14:15]
	v_fma_f64 v[48:49], v[8:9], s[6:7], -v[56:57]
	v_mul_f64 v[58:59], v[0:1], s[42:43]
	v_add_f64 v[26:27], v[52:53], v[26:27]
	v_add_f64 v[10:11], v[24:25], v[10:11]
	;; [unrolled: 1-line block ×4, first 2 shown]
	v_fma_f64 v[40:41], v[8:9], s[6:7], v[56:57]
	v_fma_f64 v[42:43], v[8:9], s[28:29], -v[12:13]
	v_mul_f64 v[52:53], v[4:5], s[44:45]
	v_fma_f64 v[8:9], v[8:9], s[28:29], v[12:13]
	v_add_f64 v[12:13], v[48:49], v[50:51]
	v_add_f64 v[20:21], v[177:178], -v[20:21]
	v_mul_f64 v[48:49], v[4:5], s[2:3]
	v_add_f64 v[16:17], v[58:59], -v[16:17]
	v_add_f64 v[40:41], v[40:41], v[44:45]
	v_add_f64 v[18:19], v[42:43], v[18:19]
	v_fma_f64 v[42:43], v[0:1], s[36:37], -v[52:53]
	v_add_f64 v[2:3], v[8:9], v[2:3]
	v_fma_f64 v[8:9], v[0:1], s[36:37], v[52:53]
	v_add_f64 v[20:21], v[20:21], v[34:35]
	v_fma_f64 v[34:35], v[0:1], s[6:7], v[48:49]
	v_mul_f64 v[44:45], v[4:5], s[22:23]
	v_add_f64 v[46:47], v[46:47], v[54:55]
	v_add_f64 v[16:17], v[16:17], v[22:23]
	v_fma_f64 v[22:23], v[0:1], s[6:7], -v[48:49]
	v_add_f64 v[38:39], v[42:43], v[38:39]
	v_mul_f64 v[42:43], v[4:5], s[38:39]
	v_add_f64 v[8:9], v[8:9], v[30:31]
	v_mul_f64 v[30:31], v[4:5], s[24:25]
	v_mul_f64 v[4:5], v[4:5], s[46:47]
	v_add_f64 v[14:15], v[34:35], v[14:15]
	v_fma_f64 v[34:35], v[0:1], s[18:19], -v[44:45]
	v_add_f64 v[22:23], v[22:23], v[46:47]
	v_fma_f64 v[44:45], v[0:1], s[18:19], v[44:45]
	v_fma_f64 v[46:47], v[0:1], s[10:11], -v[42:43]
	v_fma_f64 v[42:43], v[0:1], s[10:11], v[42:43]
	v_fma_f64 v[48:49], v[0:1], s[28:29], -v[30:31]
	v_fma_f64 v[50:51], v[0:1], s[4:5], -v[4:5]
	v_fma_f64 v[4:5], v[0:1], s[4:5], v[4:5]
	v_fma_f64 v[0:1], v[0:1], s[28:29], v[30:31]
	v_add_f64 v[26:27], v[34:35], v[26:27]
	v_add_f64 v[10:11], v[44:45], v[10:11]
	v_add_f64 v[24:25], v[46:47], v[24:25]
	v_add_f64 v[30:31], v[42:43], v[36:37]
	v_add_f64 v[12:13], v[48:49], v[12:13]
	v_add_f64 v[18:19], v[50:51], v[18:19]
	v_add_f64 v[2:3], v[4:5], v[2:3]
	v_add_f64 v[0:1], v[0:1], v[40:41]
	v_lshlrev_b32_e32 v4, 7, v165
	v_add3_u32 v4, v148, v4, v166
	ds_write2_b64 v4, v[6:7], v[16:17] offset1:1
	ds_write2_b64 v4, v[20:21], v[38:39] offset0:2 offset1:3
	ds_write2_b64 v4, v[22:23], v[26:27] offset0:4 offset1:5
	;; [unrolled: 1-line block ×7, first 2 shown]
	ds_write_b64 v4, v[32:33] offset:128
.LBB0_18:
	s_or_b64 exec, exec, s[26:27]
	v_add_u32_e32 v0, 0x800, v146
	s_waitcnt lgkmcnt(0)
	s_barrier
	ds_read2_b64 v[20:23], v0 offset0:16 offset1:101
	v_add_u32_e32 v0, 0xc00, v146
	ds_read2_b64 v[8:11], v0 offset0:58 offset1:160
	v_add_u32_e32 v0, 0x1800, v146
	;; [unrolled: 2-line block ×3, first 2 shown]
	v_add_u32_e32 v12, 0x1000, v146
	ds_read_b64 v[30:31], v147
	ds_read2_b64 v[4:7], v0 offset0:90 offset1:192
	ds_read2_b64 v[0:3], v146 offset0:85 offset1:170
	;; [unrolled: 1-line block ×3, first 2 shown]
	v_add_u32_e32 v12, 0x2000, v146
	ds_read2_b64 v[12:15], v12 offset0:149 offset1:234
                                        ; implicit-def: $vgpr38_vgpr39
                                        ; implicit-def: $vgpr34_vgpr35
                                        ; implicit-def: $vgpr36_vgpr37
	s_and_saveexec_b64 s[2:3], s[0:1]
	s_cbranch_execz .LBB0_20
; %bb.19:
	ds_read_b64 v[28:29], v146 offset:2040
	ds_read_b64 v[32:33], v146 offset:4216
	;; [unrolled: 1-line block ×5, first 2 shown]
.LBB0_20:
	s_or_b64 exec, exec, s[2:3]
	s_movk_i32 s2, 0xf1
	v_mul_lo_u16_sdwa v40, v165, s2 dst_sel:DWORD dst_unused:UNUSED_PAD src0_sel:BYTE_0 src1_sel:DWORD
	v_lshrrev_b16_e32 v187, 12, v40
	v_mul_lo_u16_e32 v40, 17, v187
	v_sub_u16_e32 v188, v165, v40
	v_mov_b32_e32 v61, 6
	v_lshlrev_b32_sdwa v56, v61, v188 dst_sel:DWORD dst_unused:UNUSED_PAD src0_sel:DWORD src1_sel:BYTE_0
	global_load_dwordx4 v[40:43], v56, s[8:9] offset:48
	global_load_dwordx4 v[44:47], v56, s[8:9] offset:32
	;; [unrolled: 1-line block ×3, first 2 shown]
	global_load_dwordx4 v[52:55], v56, s[8:9]
	v_add_u16_e32 v56, 0x55, v165
	v_mul_lo_u16_sdwa v57, v56, s2 dst_sel:DWORD dst_unused:UNUSED_PAD src0_sel:BYTE_0 src1_sel:DWORD
	v_lshrrev_b16_e32 v189, 12, v57
	v_mul_lo_u16_e32 v57, 17, v189
	v_sub_u16_e32 v190, v56, v57
	v_lshlrev_b32_sdwa v62, v61, v190 dst_sel:DWORD dst_unused:UNUSED_PAD src0_sel:DWORD src1_sel:BYTE_0
	global_load_dwordx4 v[110:113], v62, s[8:9] offset:48
	global_load_dwordx4 v[114:117], v62, s[8:9] offset:32
	;; [unrolled: 1-line block ×3, first 2 shown]
	global_load_dwordx4 v[118:121], v62, s[8:9]
	v_add_u16_e32 v62, 0xaa, v165
	v_mul_lo_u16_sdwa v63, v62, s2 dst_sel:DWORD dst_unused:UNUSED_PAD src0_sel:BYTE_0 src1_sel:DWORD
	v_lshrrev_b16_e32 v191, 12, v63
	v_mul_lo_u16_e32 v63, 17, v191
	v_sub_u16_e32 v192, v62, v63
	v_lshlrev_b32_sdwa v61, v61, v192 dst_sel:DWORD dst_unused:UNUSED_PAD src0_sel:DWORD src1_sel:BYTE_0
	global_load_dwordx4 v[122:125], v61, s[8:9] offset:16
	global_load_dwordx4 v[126:129], v61, s[8:9]
	global_load_dwordx4 v[130:133], v61, s[8:9] offset:48
	global_load_dwordx4 v[134:137], v61, s[8:9] offset:32
	v_add_u32_e32 v60, 0xff, v165
	s_mov_b32 s2, 0xf0f1
	v_mul_u32_u24_sdwa v61, v60, s2 dst_sel:DWORD dst_unused:UNUSED_PAD src0_sel:WORD_0 src1_sel:DWORD
	v_lshrrev_b32_e32 v61, 20, v61
	v_mul_lo_u16_e32 v61, 17, v61
	v_sub_u16_e32 v193, v60, v61
	v_lshlrev_b32_e32 v60, 6, v193
	global_load_dwordx4 v[138:141], v60, s[8:9]
	global_load_dwordx4 v[142:145], v60, s[8:9] offset:16
	global_load_dwordx4 v[148:151], v60, s[8:9] offset:32
	;; [unrolled: 1-line block ×3, first 2 shown]
	s_mov_b32 s6, 0x134454ff
	s_mov_b32 s7, 0xbfee6f0e
	;; [unrolled: 1-line block ×10, first 2 shown]
	s_movk_i32 s18, 0x2a8
	s_waitcnt vmcnt(0) lgkmcnt(0)
	s_barrier
	v_mul_f64 v[156:157], v[6:7], v[42:43]
	v_mul_f64 v[64:65], v[24:25], v[46:47]
	;; [unrolled: 1-line block ×8, first 2 shown]
	v_fma_f64 v[78:79], v[78:79], v[40:41], v[156:157]
	v_mul_f64 v[160:161], v[16:17], v[58:59]
	v_fma_f64 v[74:75], v[74:75], v[48:49], v[62:63]
	v_fma_f64 v[66:67], v[88:89], v[52:53], v[60:61]
	;; [unrolled: 1-line block ×3, first 2 shown]
	v_fma_f64 v[60:61], v[20:21], v[52:53], -v[54:55]
	v_fma_f64 v[52:53], v[6:7], v[40:41], -v[42:43]
	v_mul_f64 v[171:172], v[8:9], v[128:129]
	v_mul_f64 v[128:129], v[72:73], v[128:129]
	;; [unrolled: 1-line block ×6, first 2 shown]
	v_add_f64 v[40:41], v[102:103], v[66:67]
	v_add_f64 v[42:43], v[74:75], v[88:89]
	v_mul_f64 v[158:159], v[22:23], v[120:121]
	v_mul_f64 v[120:121], v[90:91], v[120:121]
	;; [unrolled: 1-line block ×9, first 2 shown]
	v_fma_f64 v[62:63], v[10:11], v[48:49], -v[50:51]
	v_fma_f64 v[58:59], v[24:25], v[44:45], -v[46:47]
	v_fma_f64 v[20:21], v[72:73], v[126:127], v[171:172]
	v_fma_f64 v[6:7], v[8:9], v[126:127], -v[128:129]
	v_fma_f64 v[8:9], v[4:5], v[134:135], -v[136:137]
	;; [unrolled: 1-line block ×3, first 2 shown]
	v_add_f64 v[14:15], v[60:61], -v[52:53]
	v_add_f64 v[46:47], v[40:41], v[74:75]
	v_fma_f64 v[72:73], v[42:43], -0.5, v[102:103]
	v_fma_f64 v[64:65], v[90:91], v[118:119], v[158:159]
	v_fma_f64 v[48:49], v[22:23], v[118:119], -v[120:121]
	v_fma_f64 v[54:55], v[84:85], v[56:57], v[160:161]
	v_fma_f64 v[50:51], v[16:17], v[56:57], -v[162:163]
	v_fma_f64 v[16:17], v[26:27], v[114:115], -v[116:117]
	v_fma_f64 v[26:27], v[80:81], v[110:111], v[169:170]
	v_fma_f64 v[22:23], v[12:13], v[110:111], -v[112:113]
	v_fma_f64 v[12:13], v[86:87], v[122:123], v[173:174]
	;; [unrolled: 2-line block ×3, first 2 shown]
	v_fma_f64 v[24:25], v[82:83], v[130:131], v[177:178]
	v_add_f64 v[76:77], v[62:63], -v[58:59]
	v_add_f64 v[80:81], v[66:67], -v[74:75]
	v_add_f64 v[82:83], v[78:79], -v[88:89]
	v_add_f64 v[84:85], v[46:47], v[88:89]
	v_fma_f64 v[86:87], v[14:15], s[6:7], v[72:73]
	v_add_f64 v[90:91], v[66:67], v[78:79]
	v_fma_f64 v[56:57], v[94:95], v[114:115], v[167:168]
	v_mul_f64 v[179:180], v[32:33], v[140:141]
	v_mul_f64 v[140:141], v[100:101], v[140:141]
	;; [unrolled: 1-line block ×3, first 2 shown]
	v_add_f64 v[80:81], v[80:81], v[82:83]
	v_add_f64 v[82:83], v[84:85], v[78:79]
	v_fma_f64 v[84:85], v[76:77], s[2:3], v[86:87]
	v_fma_f64 v[86:87], v[90:91], -0.5, v[102:103]
	v_add_f64 v[90:91], v[68:69], v[64:65]
	v_add_f64 v[92:93], v[54:55], v[56:57]
	v_fma_f64 v[44:45], v[100:101], v[138:139], v[179:180]
	v_fma_f64 v[72:73], v[14:15], s[10:11], v[72:73]
	v_mul_f64 v[181:182], v[36:37], v[144:145]
	v_mul_f64 v[183:184], v[34:35], v[150:151]
	v_add_f64 v[94:95], v[48:49], -v[22:23]
	v_fma_f64 v[100:101], v[76:77], s[10:11], v[86:87]
	v_fma_f64 v[86:87], v[76:77], s[6:7], v[86:87]
	v_add_f64 v[90:91], v[90:91], v[54:55]
	v_fma_f64 v[92:93], v[92:93], -0.5, v[68:69]
	v_mul_f64 v[154:155], v[104:105], v[154:155]
	v_fma_f64 v[46:47], v[104:105], v[152:153], v[185:186]
	v_add_f64 v[102:103], v[74:75], -v[66:67]
	v_add_f64 v[104:105], v[88:89], -v[78:79]
	v_fma_f64 v[72:73], v[76:77], s[16:17], v[72:73]
	v_fma_f64 v[100:101], v[14:15], s[2:3], v[100:101]
	;; [unrolled: 1-line block ×3, first 2 shown]
	v_add_f64 v[86:87], v[90:91], v[56:57]
	v_mul_f64 v[144:145], v[108:109], v[144:145]
	v_mul_f64 v[150:151], v[106:107], v[150:151]
	v_fma_f64 v[40:41], v[108:109], v[142:143], v[181:182]
	v_fma_f64 v[42:43], v[106:107], v[148:149], v[183:184]
	;; [unrolled: 1-line block ×3, first 2 shown]
	v_add_f64 v[108:109], v[50:51], -v[16:17]
	v_add_f64 v[110:111], v[64:65], -v[54:55]
	;; [unrolled: 1-line block ×3, first 2 shown]
	v_add_f64 v[76:77], v[64:65], v[26:27]
	v_add_f64 v[102:103], v[102:103], v[104:105]
	v_fma_f64 v[84:85], v[80:81], s[4:5], v[84:85]
	v_fma_f64 v[72:73], v[80:81], s[4:5], v[72:73]
	v_add_f64 v[80:81], v[86:87], v[26:27]
	v_add_f64 v[86:87], v[12:13], v[18:19]
	v_fma_f64 v[90:91], v[108:109], s[2:3], v[106:107]
	v_add_f64 v[106:107], v[20:21], v[24:25]
	v_add_f64 v[104:105], v[110:111], v[112:113]
	v_fma_f64 v[68:69], v[76:77], -0.5, v[68:69]
	v_fma_f64 v[76:77], v[102:103], s[4:5], v[100:101]
	v_fma_f64 v[14:15], v[102:103], s[4:5], v[14:15]
	;; [unrolled: 1-line block ×3, first 2 shown]
	v_add_f64 v[102:103], v[54:55], -v[64:65]
	v_add_f64 v[110:111], v[56:57], -v[26:27]
	v_add_f64 v[112:113], v[70:71], v[20:21]
	v_fma_f64 v[86:87], v[86:87], -0.5, v[70:71]
	v_add_f64 v[114:115], v[6:7], -v[4:5]
	v_add_f64 v[116:117], v[10:11], -v[8:9]
	v_fma_f64 v[70:71], v[106:107], -0.5, v[70:71]
	v_fma_f64 v[100:101], v[108:109], s[10:11], v[68:69]
	v_fma_f64 v[92:93], v[108:109], s[16:17], v[92:93]
	v_add_f64 v[102:103], v[102:103], v[110:111]
	v_fma_f64 v[68:69], v[108:109], s[6:7], v[68:69]
	v_add_f64 v[106:107], v[112:113], v[12:13]
	v_fma_f64 v[108:109], v[114:115], s[6:7], v[86:87]
	v_add_f64 v[110:111], v[20:21], -v[12:13]
	v_add_f64 v[112:113], v[24:25], -v[18:19]
	v_fma_f64 v[86:87], v[114:115], s[10:11], v[86:87]
	v_fma_f64 v[118:119], v[116:117], s[10:11], v[70:71]
	v_add_f64 v[120:121], v[12:13], -v[20:21]
	v_add_f64 v[122:123], v[18:19], -v[24:25]
	v_fma_f64 v[70:71], v[116:117], s[6:7], v[70:71]
	v_fma_f64 v[100:101], v[94:95], s[2:3], v[100:101]
	;; [unrolled: 1-line block ×3, first 2 shown]
	v_add_f64 v[94:95], v[106:107], v[18:19]
	v_fma_f64 v[106:107], v[116:117], s[2:3], v[108:109]
	v_add_f64 v[108:109], v[110:111], v[112:113]
	v_fma_f64 v[86:87], v[116:117], s[16:17], v[86:87]
	v_fma_f64 v[110:111], v[114:115], s[2:3], v[118:119]
	v_add_f64 v[112:113], v[120:121], v[122:123]
	v_fma_f64 v[70:71], v[114:115], s[16:17], v[70:71]
	v_fma_f64 v[32:33], v[32:33], v[138:139], -v[140:141]
	v_fma_f64 v[36:37], v[36:37], v[142:143], -v[144:145]
	;; [unrolled: 1-line block ×4, first 2 shown]
	v_fma_f64 v[90:91], v[104:105], s[4:5], v[90:91]
	v_fma_f64 v[92:93], v[104:105], s[4:5], v[92:93]
	v_add_f64 v[94:95], v[94:95], v[24:25]
	v_fma_f64 v[104:105], v[108:109], s[4:5], v[106:107]
	v_fma_f64 v[100:101], v[102:103], s[4:5], v[100:101]
	;; [unrolled: 1-line block ×6, first 2 shown]
	v_mov_b32_e32 v71, 3
	v_mad_u32_u24 v68, v187, s18, 0
	v_lshlrev_b32_sdwa v69, v71, v188 dst_sel:DWORD dst_unused:UNUSED_PAD src0_sel:DWORD src1_sel:BYTE_0
	v_add3_u32 v69, v68, v69, v166
	ds_write2_b64 v69, v[82:83], v[84:85] offset1:17
	ds_write2_b64 v69, v[76:77], v[14:15] offset0:34 offset1:51
	ds_write_b64 v69, v[72:73] offset:544
	v_mad_u32_u24 v14, v189, s18, 0
	v_lshlrev_b32_sdwa v15, v71, v190 dst_sel:DWORD dst_unused:UNUSED_PAD src0_sel:DWORD src1_sel:BYTE_0
	v_add3_u32 v70, v14, v15, v166
	v_mad_u32_u24 v14, v191, s18, 0
	v_lshlrev_b32_sdwa v15, v71, v192 dst_sel:DWORD dst_unused:UNUSED_PAD src0_sel:DWORD src1_sel:BYTE_0
	v_add3_u32 v71, v14, v15, v166
	v_lshlrev_b32_e32 v68, 3, v193
	ds_write2_b64 v70, v[80:81], v[90:91] offset1:17
	ds_write2_b64 v70, v[100:101], v[102:103] offset0:34 offset1:51
	ds_write_b64 v70, v[92:93] offset:544
	ds_write2_b64 v71, v[94:95], v[104:105] offset1:17
	ds_write2_b64 v71, v[106:107], v[108:109] offset0:34 offset1:51
	ds_write_b64 v71, v[86:87] offset:544
	s_and_saveexec_b64 s[18:19], s[0:1]
	s_cbranch_execz .LBB0_22
; %bb.21:
	v_add_f64 v[72:73], v[40:41], v[42:43]
	v_add_f64 v[14:15], v[44:45], v[46:47]
	v_add_f64 v[76:77], v[32:33], -v[38:39]
	v_add_f64 v[82:83], v[98:99], v[44:45]
	v_add_f64 v[80:81], v[36:37], -v[34:35]
	v_add_f64 v[84:85], v[40:41], -v[44:45]
	;; [unrolled: 1-line block ×4, first 2 shown]
	v_fma_f64 v[72:73], v[72:73], -0.5, v[98:99]
	v_fma_f64 v[14:15], v[14:15], -0.5, v[98:99]
	v_add_f64 v[92:93], v[46:47], -v[42:43]
	v_add_f64 v[82:83], v[82:83], v[40:41]
	v_add_f64 v[84:85], v[84:85], v[86:87]
	v_fma_f64 v[98:99], v[76:77], s[6:7], v[72:73]
	v_fma_f64 v[94:95], v[80:81], s[6:7], v[14:15]
	;; [unrolled: 1-line block ×4, first 2 shown]
	v_add_f64 v[86:87], v[90:91], v[92:93]
	v_add_f64 v[82:83], v[82:83], v[42:43]
	v_fma_f64 v[92:93], v[80:81], s[2:3], v[98:99]
	v_fma_f64 v[90:91], v[76:77], s[16:17], v[94:95]
	;; [unrolled: 1-line block ×4, first 2 shown]
	v_add_f64 v[76:77], v[82:83], v[46:47]
	v_fma_f64 v[82:83], v[86:87], s[4:5], v[92:93]
	v_fma_f64 v[80:81], v[84:85], s[4:5], v[90:91]
	;; [unrolled: 1-line block ×4, first 2 shown]
	v_add3_u32 v84, 0, v68, v166
	v_add_u32_e32 v85, 0x2400, v84
	v_add_u32_e32 v86, 0x2800, v84
	ds_write2_b64 v85, v[76:77], v[82:83] offset0:123 offset1:140
	ds_write2_b64 v86, v[14:15], v[80:81] offset0:29 offset1:46
	ds_write_b64 v84, v[72:73] offset:10744
.LBB0_22:
	s_or_b64 exec, exec, s[18:19]
	v_add_f64 v[14:15], v[30:31], v[60:61]
	v_add_f64 v[72:73], v[62:63], v[58:59]
	v_add_f64 v[66:67], v[66:67], -v[78:79]
	v_add_f64 v[78:79], v[60:61], v[52:53]
	v_add_f64 v[76:77], v[60:61], -v[62:63]
	v_add_f64 v[60:61], v[62:63], -v[60:61]
	;; [unrolled: 1-line block ×4, first 2 shown]
	v_add_f64 v[14:15], v[14:15], v[62:63]
	v_fma_f64 v[72:73], v[72:73], -0.5, v[30:31]
	v_add_f64 v[62:63], v[0:1], v[48:49]
	v_add_f64 v[84:85], v[58:59], -v[52:53]
	v_fma_f64 v[30:31], v[78:79], -0.5, v[30:31]
	v_add_f64 v[82:83], v[50:51], v[16:17]
	v_add_f64 v[26:27], v[64:65], -v[26:27]
	v_add_f64 v[76:77], v[76:77], v[80:81]
	v_add_f64 v[14:15], v[14:15], v[58:59]
	v_fma_f64 v[58:59], v[66:67], s[10:11], v[72:73]
	v_add_f64 v[62:63], v[62:63], v[50:51]
	v_fma_f64 v[72:73], v[66:67], s[6:7], v[72:73]
	v_fma_f64 v[78:79], v[74:75], s[6:7], v[30:31]
	;; [unrolled: 1-line block ×3, first 2 shown]
	v_fma_f64 v[64:65], v[82:83], -0.5, v[0:1]
	v_add_f64 v[54:55], v[54:55], -v[56:57]
	v_add_f64 v[52:53], v[14:15], v[52:53]
	v_fma_f64 v[14:15], v[74:75], s[16:17], v[58:59]
	v_add_f64 v[62:63], v[62:63], v[16:17]
	v_fma_f64 v[72:73], v[74:75], s[2:3], v[72:73]
	;; [unrolled: 2-line block ×3, first 2 shown]
	v_fma_f64 v[30:31], v[66:67], s[2:3], v[30:31]
	v_add_f64 v[56:57], v[48:49], -v[50:51]
	v_add_f64 v[60:61], v[60:61], v[84:85]
	v_fma_f64 v[66:67], v[76:77], s[4:5], v[14:15]
	v_add_f64 v[14:15], v[10:11], v[8:9]
	v_add_f64 v[48:49], v[50:51], -v[48:49]
	v_add_f64 v[50:51], v[6:7], v[4:5]
	v_add_f64 v[80:81], v[22:23], -v[16:17]
	v_add_f64 v[62:63], v[62:63], v[22:23]
	v_add_f64 v[16:17], v[16:17], -v[22:23]
	v_add_f64 v[22:23], v[2:3], v[6:7]
	v_fma_f64 v[0:1], v[74:75], -0.5, v[0:1]
	v_fma_f64 v[14:15], v[14:15], -0.5, v[2:3]
	v_add_f64 v[20:21], v[20:21], -v[24:25]
	v_fma_f64 v[58:59], v[26:27], s[10:11], v[64:65]
	v_fma_f64 v[74:75], v[60:61], s[4:5], v[78:79]
	;; [unrolled: 1-line block ×4, first 2 shown]
	v_add_f64 v[12:13], v[12:13], -v[18:19]
	v_fma_f64 v[2:3], v[50:51], -0.5, v[2:3]
	v_add_f64 v[18:19], v[22:23], v[10:11]
	v_fma_f64 v[64:65], v[54:55], s[6:7], v[0:1]
	v_add_f64 v[16:17], v[48:49], v[16:17]
	v_fma_f64 v[0:1], v[54:55], s[10:11], v[0:1]
	v_fma_f64 v[22:23], v[20:21], s[10:11], v[14:15]
	v_add_f64 v[48:49], v[6:7], -v[10:11]
	v_add_f64 v[50:51], v[4:5], -v[8:9]
	v_fma_f64 v[14:15], v[20:21], s[6:7], v[14:15]
	v_fma_f64 v[58:59], v[54:55], s[16:17], v[58:59]
	;; [unrolled: 1-line block ×4, first 2 shown]
	v_add_f64 v[6:7], v[10:11], -v[6:7]
	v_add_f64 v[10:11], v[8:9], -v[4:5]
	v_fma_f64 v[2:3], v[12:13], s[10:11], v[2:3]
	v_add_f64 v[8:9], v[18:19], v[8:9]
	v_add_f64 v[56:57], v[56:57], v[80:81]
	v_fma_f64 v[30:31], v[26:27], s[16:17], v[64:65]
	v_fma_f64 v[0:1], v[26:27], s[2:3], v[0:1]
	;; [unrolled: 1-line block ×3, first 2 shown]
	v_add_f64 v[22:23], v[48:49], v[50:51]
	v_fma_f64 v[12:13], v[12:13], s[2:3], v[14:15]
	v_fma_f64 v[14:15], v[20:21], s[16:17], v[54:55]
	v_add_f64 v[6:7], v[6:7], v[10:11]
	v_fma_f64 v[2:3], v[20:21], s[2:3], v[2:3]
	v_add_f64 v[64:65], v[8:9], v[4:5]
	v_add_u32_e32 v4, 0x400, v146
	s_waitcnt lgkmcnt(0)
	s_barrier
	ds_read2_b64 v[8:11], v4 offset0:127 offset1:212
	v_add_u32_e32 v4, 0x800, v146
	v_fma_f64 v[72:73], v[76:77], s[4:5], v[72:73]
	v_fma_f64 v[58:59], v[56:57], s[4:5], v[58:59]
	;; [unrolled: 1-line block ×7, first 2 shown]
	ds_read2_b64 v[20:23], v4 offset0:169 offset1:254
	v_add_u32_e32 v4, 0x1000, v146
	v_add_u32_e32 v12, 0x1400, v146
	;; [unrolled: 1-line block ×4, first 2 shown]
	v_fma_f64 v[80:81], v[6:7], s[4:5], v[14:15]
	v_fma_f64 v[82:83], v[6:7], s[4:5], v[2:3]
	ds_read2_b64 v[0:3], v146 offset0:85 offset1:170
	ds_read2_b64 v[4:7], v4 offset0:83 offset1:168
	;; [unrolled: 1-line block ×5, first 2 shown]
	ds_read_b64 v[30:31], v147
	ds_read_b64 v[48:49], v146 offset:10200
	s_waitcnt lgkmcnt(0)
	s_barrier
	ds_write2_b64 v69, v[52:53], v[66:67] offset1:17
	ds_write2_b64 v69, v[74:75], v[60:61] offset0:34 offset1:51
	ds_write_b64 v69, v[72:73] offset:544
	ds_write2_b64 v70, v[62:63], v[58:59] offset1:17
	ds_write2_b64 v70, v[54:55], v[56:57] offset0:34 offset1:51
	ds_write_b64 v70, v[50:51] offset:544
	;; [unrolled: 3-line block ×3, first 2 shown]
	s_and_saveexec_b64 s[2:3], s[0:1]
	s_cbranch_execz .LBB0_24
; %bb.23:
	v_add_f64 v[50:51], v[36:37], v[34:35]
	v_add_f64 v[44:45], v[44:45], -v[46:47]
	v_add_f64 v[46:47], v[32:33], v[38:39]
	v_add_f64 v[52:53], v[28:29], v[32:33]
	v_add_f64 v[40:41], v[40:41], -v[42:43]
	s_mov_b32 s0, 0x134454ff
	s_mov_b32 s1, 0x3fee6f0e
	;; [unrolled: 1-line block ×3, first 2 shown]
	v_fma_f64 v[42:43], v[50:51], -0.5, v[28:29]
	v_add_f64 v[50:51], v[32:33], -v[36:37]
	v_fma_f64 v[28:29], v[46:47], -0.5, v[28:29]
	v_add_f64 v[46:47], v[38:39], -v[34:35]
	v_add_f64 v[32:33], v[36:37], -v[32:33]
	v_add_f64 v[36:37], v[52:53], v[36:37]
	s_mov_b32 s6, s0
	v_add_f64 v[54:55], v[34:35], -v[38:39]
	v_fma_f64 v[52:53], v[44:45], s[0:1], v[42:43]
	v_fma_f64 v[42:43], v[44:45], s[6:7], v[42:43]
	;; [unrolled: 1-line block ×4, first 2 shown]
	s_mov_b32 s4, 0x4755a5e
	s_mov_b32 s5, 0x3fe2cf23
	v_add_f64 v[46:47], v[50:51], v[46:47]
	v_add_f64 v[34:35], v[36:37], v[34:35]
	v_fma_f64 v[36:37], v[40:41], s[4:5], v[52:53]
	s_mov_b32 s1, 0xbfe2cf23
	s_mov_b32 s0, s4
	v_fma_f64 v[50:51], v[44:45], s[4:5], v[56:57]
	v_add_f64 v[32:33], v[32:33], v[54:55]
	v_fma_f64 v[28:29], v[44:45], s[0:1], v[28:29]
	v_fma_f64 v[40:41], v[40:41], s[0:1], v[42:43]
	s_mov_b32 s0, 0x372fe950
	s_mov_b32 s1, 0x3fd3c6ef
	v_add_f64 v[34:35], v[34:35], v[38:39]
	v_fma_f64 v[36:37], v[46:47], s[0:1], v[36:37]
	v_fma_f64 v[38:39], v[32:33], s[0:1], v[50:51]
	;; [unrolled: 1-line block ×4, first 2 shown]
	v_add3_u32 v40, 0, v68, v166
	v_add_u32_e32 v41, 0x2400, v40
	ds_write2_b64 v41, v[34:35], v[36:37] offset0:123 offset1:140
	v_add_u32_e32 v34, 0x2800, v40
	ds_write2_b64 v34, v[38:39], v[28:29] offset0:29 offset1:46
	ds_write_b64 v40, v[32:33] offset:10744
.LBB0_24:
	s_or_b64 exec, exec, s[2:3]
	s_waitcnt lgkmcnt(0)
	s_barrier
	s_and_saveexec_b64 s[0:1], vcc
	s_cbranch_execz .LBB0_26
; %bb.25:
	v_mul_u32_u24_e32 v28, 15, v165
	v_lshlrev_b32_e32 v28, 4, v28
	global_load_dwordx4 v[32:35], v28, s[8:9] offset:1200
	global_load_dwordx4 v[36:39], v28, s[8:9] offset:1136
	;; [unrolled: 1-line block ×15, first 2 shown]
	ds_read2_b64 v[98:101], v146 offset0:85 offset1:170
	v_add_u32_e32 v102, 0x1000, v146
	v_add_u32_e32 v106, 0x400, v146
	;; [unrolled: 1-line block ×6, first 2 shown]
	ds_read_b64 v[28:29], v147
	ds_read_b64 v[94:95], v146 offset:10200
	ds_read2_b64 v[102:105], v102 offset0:83 offset1:168
	ds_read2_b64 v[106:109], v106 offset0:127 offset1:212
	ds_read2_b64 v[110:113], v110 offset0:167 offset1:252
	ds_read2_b64 v[114:117], v114 offset0:125 offset1:210
	ds_read2_b64 v[118:121], v118 offset0:169 offset1:254
	ds_read2_b64 v[122:125], v122 offset0:81 offset1:166
	s_mov_b32 s0, 0x667f3bcd
	s_mov_b32 s1, 0x3fe6a09e
	;; [unrolled: 1-line block ×12, first 2 shown]
	s_waitcnt vmcnt(14)
	v_mul_f64 v[126:127], v[6:7], v[34:35]
	s_waitcnt vmcnt(13)
	v_mul_f64 v[128:129], v[10:11], v[36:37]
	;; [unrolled: 2-line block ×7, first 2 shown]
	s_waitcnt lgkmcnt(8)
	v_mul_f64 v[46:47], v[100:101], v[46:47]
	s_waitcnt lgkmcnt(2)
	v_mul_f64 v[52:53], v[116:117], v[52:53]
	v_mul_f64 v[22:23], v[22:23], v[56:57]
	;; [unrolled: 1-line block ×3, first 2 shown]
	s_waitcnt vmcnt(7)
	v_mul_f64 v[140:141], v[0:1], v[64:65]
	s_waitcnt vmcnt(6)
	v_mul_f64 v[142:143], v[12:13], v[68:69]
	;; [unrolled: 2-line block ×8, first 2 shown]
	v_mul_f64 v[80:81], v[106:107], v[80:81]
	v_mul_f64 v[84:85], v[110:111], v[84:85]
	;; [unrolled: 1-line block ×11, first 2 shown]
	v_fma_f64 v[104:105], v[104:105], v[32:33], -v[126:127]
	v_fma_f64 v[38:39], v[108:109], v[38:39], v[128:129]
	v_fma_f64 v[42:43], v[112:113], v[42:43], v[130:131]
	v_fma_f64 v[100:101], v[100:101], v[44:45], -v[132:133]
	v_fma_f64 v[116:117], v[116:117], v[50:51], -v[134:135]
	s_waitcnt lgkmcnt(1)
	v_fma_f64 v[56:57], v[120:121], v[56:57], v[136:137]
	s_waitcnt lgkmcnt(0)
	v_fma_f64 v[60:61], v[124:125], v[60:61], v[138:139]
	v_fma_f64 v[2:3], v[2:3], v[44:45], v[46:47]
	;; [unrolled: 1-line block ×3, first 2 shown]
	v_fma_f64 v[22:23], v[120:121], v[54:55], -v[22:23]
	v_fma_f64 v[26:27], v[124:125], v[58:59], -v[26:27]
	;; [unrolled: 1-line block ×4, first 2 shown]
	v_fma_f64 v[50:51], v[118:119], v[72:73], v[144:145]
	v_fma_f64 v[52:53], v[122:123], v[76:77], v[146:147]
	v_fma_f64 v[54:55], v[106:107], v[78:79], -v[148:149]
	v_fma_f64 v[58:59], v[110:111], v[82:83], -v[150:151]
	v_fma_f64 v[72:73], v[102:103], v[88:89], v[152:153]
	v_fma_f64 v[76:77], v[94:95], v[92:93], v[154:155]
	;; [unrolled: 1-line block ×4, first 2 shown]
	v_fma_f64 v[4:5], v[102:103], v[86:87], -v[4:5]
	v_fma_f64 v[48:49], v[94:95], v[90:91], -v[48:49]
	v_fma_f64 v[0:1], v[0:1], v[62:63], v[64:65]
	v_fma_f64 v[12:13], v[12:13], v[66:67], v[68:69]
	v_fma_f64 v[20:21], v[118:119], v[70:71], -v[20:21]
	v_fma_f64 v[24:25], v[122:123], v[74:75], -v[24:25]
	v_fma_f64 v[10:11], v[108:109], v[36:37], -v[10:11]
	v_fma_f64 v[18:19], v[112:113], v[40:41], -v[18:19]
	v_fma_f64 v[6:7], v[6:7], v[32:33], v[34:35]
	v_add_f64 v[32:33], v[28:29], -v[104:105]
	v_add_f64 v[34:35], v[38:39], -v[42:43]
	;; [unrolled: 1-line block ×20, first 2 shown]
	v_add_f64 v[68:69], v[14:15], v[26:27]
	v_fma_f64 v[70:71], v[62:63], s[0:1], v[60:61]
	v_add_f64 v[74:75], v[16:17], v[48:49]
	v_fma_f64 v[76:77], v[66:67], s[0:1], v[64:65]
	v_fma_f64 v[28:29], v[28:29], 2.0, -v[32:33]
	v_add_f64 v[78:79], v[12:13], v[24:25]
	v_fma_f64 v[10:11], v[10:11], 2.0, -v[18:19]
	v_add_f64 v[80:81], v[6:7], v[18:19]
	v_fma_f64 v[20:21], v[20:21], 2.0, -v[24:25]
	v_fma_f64 v[70:71], v[68:69], s[2:3], v[70:71]
	v_fma_f64 v[24:25], v[8:9], 2.0, -v[16:17]
	v_fma_f64 v[76:77], v[74:75], s[2:3], v[76:77]
	;; [unrolled: 2-line block ×4, first 2 shown]
	v_fma_f64 v[2:3], v[56:57], 2.0, -v[40:41]
	v_fma_f64 v[40:41], v[44:45], 2.0, -v[42:43]
	v_add_f64 v[58:59], v[28:29], -v[10:11]
	v_fma_f64 v[84:85], v[76:77], s[4:5], v[70:71]
	v_add_f64 v[72:73], v[24:25], -v[8:9]
	v_fma_f64 v[44:45], v[66:67], s[0:1], v[18:19]
	v_fma_f64 v[4:5], v[4:5], 2.0, -v[48:49]
	v_fma_f64 v[56:57], v[62:63], s[0:1], v[82:83]
	v_fma_f64 v[82:83], v[0:1], 2.0, -v[12:13]
	v_fma_f64 v[0:1], v[50:51], 2.0, -v[46:47]
	;; [unrolled: 1-line block ×7, first 2 shown]
	v_add_f64 v[18:19], v[86:87], -v[2:3]
	v_fma_f64 v[2:3], v[44:45], s[6:7], v[84:85]
	v_add_f64 v[38:39], v[82:83], -v[0:1]
	v_add_f64 v[50:51], v[46:47], -v[4:5]
	v_fma_f64 v[4:5], v[36:37], 2.0, -v[62:63]
	v_add_f64 v[54:55], v[48:49], -v[8:9]
	v_fma_f64 v[8:9], v[14:15], 2.0, -v[68:69]
	;; [unrolled: 2-line block ×3, first 2 shown]
	v_fma_f64 v[10:11], v[52:53], 2.0, -v[66:67]
	v_fma_f64 v[14:15], v[16:17], 2.0, -v[74:75]
	v_fma_f64 v[42:43], v[12:13], 2.0, -v[78:79]
	v_fma_f64 v[52:53], v[6:7], 2.0, -v[80:81]
	v_add_f64 v[20:21], v[40:41], -v[20:21]
	v_fma_f64 v[26:27], v[44:45], s[4:5], v[56:57]
	v_fma_f64 v[32:33], v[32:33], 2.0, -v[60:61]
	v_add_f64 v[62:63], v[38:39], v[50:51]
	v_add_f64 v[66:67], v[84:85], v[54:55]
	v_add_f64 v[30:31], v[58:59], -v[18:19]
	v_fma_f64 v[68:69], v[14:15], s[2:3], v[42:43]
	v_fma_f64 v[74:75], v[8:9], s[2:3], v[52:53]
	v_add_f64 v[34:35], v[20:21], -v[72:73]
	v_fma_f64 v[16:17], v[10:11], s[2:3], v[36:37]
	v_fma_f64 v[12:13], v[4:5], s[2:3], v[32:33]
	;; [unrolled: 1-line block ×4, first 2 shown]
	v_fma_f64 v[92:93], v[28:29], 2.0, -v[58:59]
	v_fma_f64 v[68:69], v[10:11], s[0:1], v[68:69]
	v_fma_f64 v[74:75], v[4:5], s[0:1], v[74:75]
	;; [unrolled: 1-line block ×5, first 2 shown]
	v_fma_f64 v[24:25], v[24:25], 2.0, -v[72:73]
	v_fma_f64 v[4:5], v[34:35], s[0:1], v[26:27]
	v_fma_f64 v[26:27], v[48:49], 2.0, -v[54:55]
	v_fma_f64 v[48:49], v[82:83], 2.0, -v[38:39]
	v_fma_f64 v[16:17], v[68:69], s[8:9], v[74:75]
	v_fma_f64 v[54:55], v[22:23], 2.0, -v[84:85]
	v_fma_f64 v[22:23], v[86:87], 2.0, -v[18:19]
	;; [unrolled: 1-line block ×6, first 2 shown]
	v_fma_f64 v[6:7], v[62:63], s[2:3], v[6:7]
	v_fma_f64 v[10:11], v[70:71], 2.0, -v[2:3]
	v_fma_f64 v[8:9], v[56:57], 2.0, -v[0:1]
	v_fma_f64 v[12:13], v[90:91], s[8:9], v[88:89]
	v_fma_f64 v[16:17], v[90:91], s[4:5], v[16:17]
	v_add_f64 v[60:61], v[92:93], -v[26:27]
	v_add_f64 v[64:65], v[48:49], -v[24:25]
	;; [unrolled: 1-line block ×4, first 2 shown]
	v_fma_f64 v[28:29], v[50:51], s[6:7], v[46:47]
	v_fma_f64 v[44:45], v[78:79], 2.0, -v[44:45]
	v_fma_f64 v[56:57], v[80:81], 2.0, -v[56:57]
	;; [unrolled: 1-line block ×5, first 2 shown]
	v_fma_f64 v[18:19], v[68:69], s[10:11], v[12:13]
	v_fma_f64 v[12:13], v[66:67], 2.0, -v[4:5]
	v_fma_f64 v[20:21], v[74:75], 2.0, -v[16:17]
	v_add_f64 v[26:27], v[60:61], -v[64:65]
	v_add_f64 v[24:25], v[70:71], v[72:73]
	v_fma_f64 v[30:31], v[44:45], s[10:11], v[28:29]
	v_fma_f64 v[28:29], v[44:45], s[6:7], v[56:57]
	;; [unrolled: 1-line block ×3, first 2 shown]
	v_fma_f64 v[62:63], v[38:39], 2.0, -v[62:63]
	v_fma_f64 v[66:67], v[84:85], 2.0, -v[66:67]
	;; [unrolled: 1-line block ×8, first 2 shown]
	v_fma_f64 v[42:43], v[62:63], s[2:3], v[44:45]
	v_fma_f64 v[44:45], v[62:63], s[2:3], v[66:67]
	v_fma_f64 v[60:61], v[92:93], 2.0, -v[60:61]
	v_fma_f64 v[52:53], v[68:69], s[10:11], v[74:75]
	v_fma_f64 v[62:63], v[40:41], 2.0, -v[72:73]
	v_fma_f64 v[70:71], v[54:55], 2.0, -v[70:71]
	v_fma_f64 v[48:49], v[48:49], 2.0, -v[64:65]
	v_fma_f64 v[28:29], v[50:51], s[4:5], v[28:29]
	v_fma_f64 v[38:39], v[46:47], 2.0, -v[30:31]
	v_fma_f64 v[40:41], v[76:77], s[0:1], v[44:45]
	v_fma_f64 v[46:47], v[80:81], s[10:11], v[78:79]
	;; [unrolled: 1-line block ×3, first 2 shown]
	v_add_f64 v[54:55], v[60:61], -v[62:63]
	v_mad_u64_u32 v[64:65], s[0:1], s12, v164, 0
	v_add_f64 v[52:53], v[70:71], -v[48:49]
	v_fma_f64 v[36:37], v[56:57], 2.0, -v[28:29]
	v_mov_b32_e32 v56, v65
	v_fma_f64 v[48:49], v[66:67], 2.0, -v[40:41]
	v_mad_u64_u32 v[65:66], s[0:1], s13, v164, v[56:57]
	v_fma_f64 v[62:63], v[60:61], 2.0, -v[54:55]
	v_fma_f64 v[46:47], v[68:69], s[6:7], v[46:47]
	v_fma_f64 v[60:61], v[70:71], 2.0, -v[52:53]
	v_lshlrev_b64 v[66:67], 4, v[96:97]
	v_add_u32_e32 v71, 0x55, v164
	v_mad_u64_u32 v[68:69], s[0:1], s12, v71, 0
	v_mov_b32_e32 v70, s15
	v_add_co_u32_e32 v72, vcc, s14, v66
	v_lshlrev_b64 v[64:65], 4, v[64:65]
	v_addc_co_u32_e32 v70, vcc, v70, v67, vcc
	v_add_co_u32_e32 v64, vcc, v72, v64
	v_mov_b32_e32 v66, v69
	v_addc_co_u32_e32 v65, vcc, v70, v65, vcc
	v_mad_u64_u32 v[66:67], s[0:1], s13, v71, v[66:67]
	global_store_dwordx4 v[64:65], v[60:63], off
	v_add_u32_e32 v64, 0xaa, v164
	v_fma_f64 v[50:51], v[58:59], 2.0, -v[42:43]
	v_fma_f64 v[58:59], v[78:79], 2.0, -v[46:47]
	;; [unrolled: 1-line block ×3, first 2 shown]
	v_mad_u64_u32 v[62:63], s[0:1], s12, v64, 0
	v_mov_b32_e32 v69, v66
	v_lshlrev_b64 v[60:61], 4, v[68:69]
	v_mad_u64_u32 v[63:64], s[0:1], s13, v64, v[63:64]
	v_add_co_u32_e32 v60, vcc, v72, v60
	v_addc_co_u32_e32 v61, vcc, v70, v61, vcc
	v_add_u32_e32 v66, 0xff, v164
	v_mad_u64_u32 v[64:65], s[0:1], s12, v66, 0
	global_store_dwordx4 v[60:61], v[56:59], off
	v_fma_f64 v[22:23], v[88:89], 2.0, -v[18:19]
	v_lshlrev_b64 v[56:57], 4, v[62:63]
	v_mov_b32_e32 v58, v65
	v_add_co_u32_e32 v56, vcc, v72, v56
	v_addc_co_u32_e32 v57, vcc, v70, v57, vcc
	global_store_dwordx4 v[56:57], v[48:51], off
	v_add_u32_e32 v56, 0x154, v164
	v_mad_u64_u32 v[58:59], s[0:1], s13, v66, v[58:59]
	v_mad_u64_u32 v[50:51], s[0:1], s12, v56, 0
	v_mov_b32_e32 v65, v58
	v_lshlrev_b64 v[48:49], 4, v[64:65]
	v_mad_u64_u32 v[56:57], s[0:1], s13, v56, v[51:52]
	v_add_co_u32_e32 v48, vcc, v72, v48
	v_add_u32_e32 v59, 0x1a9, v164
	v_addc_co_u32_e32 v49, vcc, v70, v49, vcc
	v_mad_u64_u32 v[57:58], s[0:1], s12, v59, 0
	v_mov_b32_e32 v51, v56
	global_store_dwordx4 v[48:49], v[36:39], off
	s_nop 0
	v_lshlrev_b64 v[36:37], 4, v[50:51]
	v_mov_b32_e32 v38, v58
	v_add_co_u32_e32 v36, vcc, v72, v36
	v_addc_co_u32_e32 v37, vcc, v70, v37, vcc
	v_mad_u64_u32 v[38:39], s[0:1], s13, v59, v[38:39]
	global_store_dwordx4 v[36:37], v[32:35], off
	v_add_u32_e32 v36, 0x1fe, v164
	v_mad_u64_u32 v[34:35], s[0:1], s12, v36, 0
	v_mov_b32_e32 v58, v38
	v_lshlrev_b64 v[32:33], 4, v[57:58]
	v_mad_u64_u32 v[35:36], s[0:1], s13, v36, v[35:36]
	v_add_co_u32_e32 v32, vcc, v72, v32
	v_addc_co_u32_e32 v33, vcc, v70, v33, vcc
	v_add_u32_e32 v38, 0x253, v164
	v_mad_u64_u32 v[36:37], s[0:1], s12, v38, 0
	global_store_dwordx4 v[32:33], v[20:23], off
	s_nop 0
	v_lshlrev_b64 v[20:21], 4, v[34:35]
	v_mov_b32_e32 v22, v37
	v_add_co_u32_e32 v20, vcc, v72, v20
	v_addc_co_u32_e32 v21, vcc, v70, v21, vcc
	global_store_dwordx4 v[20:21], v[12:15], off
	v_add_u32_e32 v20, 0x2a8, v164
	v_mad_u64_u32 v[22:23], s[0:1], s13, v38, v[22:23]
	v_mad_u64_u32 v[14:15], s[0:1], s12, v20, 0
	v_mov_b32_e32 v37, v22
	v_add_u32_e32 v23, 0x2fd, v164
	v_mad_u64_u32 v[20:21], s[0:1], s13, v20, v[15:16]
	v_lshlrev_b64 v[12:13], 4, v[36:37]
	v_mad_u64_u32 v[21:22], s[0:1], s12, v23, 0
	v_add_co_u32_e32 v12, vcc, v72, v12
	v_addc_co_u32_e32 v13, vcc, v70, v13, vcc
	global_store_dwordx4 v[12:13], v[8:11], off
	v_add_u32_e32 v12, 0x352, v164
	v_mov_b32_e32 v10, v22
	v_mad_u64_u32 v[10:11], s[0:1], s13, v23, v[10:11]
	v_mov_b32_e32 v15, v20
	v_lshlrev_b64 v[8:9], 4, v[14:15]
	v_mov_b32_e32 v22, v10
	v_mad_u64_u32 v[10:11], s[0:1], s12, v12, 0
	v_add_co_u32_e32 v8, vcc, v72, v8
	v_addc_co_u32_e32 v9, vcc, v70, v9, vcc
	v_mad_u64_u32 v[11:12], s[0:1], s13, v12, v[11:12]
	v_add_u32_e32 v14, 0x3a7, v164
	global_store_dwordx4 v[8:9], v[52:55], off
	v_lshlrev_b64 v[8:9], 4, v[21:22]
	v_mad_u64_u32 v[12:13], s[0:1], s12, v14, 0
	v_add_co_u32_e32 v8, vcc, v72, v8
	v_addc_co_u32_e32 v9, vcc, v70, v9, vcc
	global_store_dwordx4 v[8:9], v[44:47], off
	v_lshlrev_b64 v[8:9], 4, v[10:11]
	v_mov_b32_e32 v10, v13
	v_mad_u64_u32 v[10:11], s[0:1], s13, v14, v[10:11]
	v_add_co_u32_e32 v8, vcc, v72, v8
	v_addc_co_u32_e32 v9, vcc, v70, v9, vcc
	v_mov_b32_e32 v13, v10
	global_store_dwordx4 v[8:9], v[40:43], off
	v_lshlrev_b64 v[8:9], 4, v[12:13]
	v_add_u32_e32 v12, 0x3fc, v164
	v_mad_u64_u32 v[10:11], s[0:1], s12, v12, 0
	v_add_u32_e32 v14, 0x451, v164
	v_add_co_u32_e32 v8, vcc, v72, v8
	v_mad_u64_u32 v[11:12], s[0:1], s13, v12, v[11:12]
	v_mad_u64_u32 v[12:13], s[0:1], s12, v14, 0
	v_addc_co_u32_e32 v9, vcc, v70, v9, vcc
	global_store_dwordx4 v[8:9], v[28:31], off
	v_lshlrev_b64 v[8:9], 4, v[10:11]
	v_mov_b32_e32 v10, v13
	v_mad_u64_u32 v[10:11], s[0:1], s13, v14, v[10:11]
	v_add_co_u32_e32 v8, vcc, v72, v8
	v_addc_co_u32_e32 v9, vcc, v70, v9, vcc
	v_mov_b32_e32 v13, v10
	global_store_dwordx4 v[8:9], v[24:27], off
	v_lshlrev_b64 v[8:9], 4, v[12:13]
	v_add_u32_e32 v12, 0x4a6, v164
	v_mad_u64_u32 v[10:11], s[0:1], s12, v12, 0
	v_add_u32_e32 v14, 0x4fb, v164
	v_add_co_u32_e32 v8, vcc, v72, v8
	v_mad_u64_u32 v[11:12], s[0:1], s13, v12, v[11:12]
	v_mad_u64_u32 v[12:13], s[0:1], s12, v14, 0
	v_addc_co_u32_e32 v9, vcc, v70, v9, vcc
	global_store_dwordx4 v[8:9], v[16:19], off
	v_lshlrev_b64 v[8:9], 4, v[10:11]
	v_mov_b32_e32 v10, v13
	v_mad_u64_u32 v[10:11], s[0:1], s13, v14, v[10:11]
	v_add_co_u32_e32 v8, vcc, v72, v8
	v_addc_co_u32_e32 v9, vcc, v70, v9, vcc
	v_mov_b32_e32 v13, v10
	global_store_dwordx4 v[8:9], v[4:7], off
	s_nop 0
	v_lshlrev_b64 v[4:5], 4, v[12:13]
	v_add_co_u32_e32 v4, vcc, v72, v4
	v_addc_co_u32_e32 v5, vcc, v70, v5, vcc
	global_store_dwordx4 v[4:5], v[0:3], off
.LBB0_26:
	s_endpgm
	.section	.rodata,"a",@progbits
	.p2align	6, 0x0
	.amdhsa_kernel fft_rtc_back_len1360_factors_17_5_16_wgs_255_tpt_85_halfLds_dp_ip_CI_sbrr_dirReg
		.amdhsa_group_segment_fixed_size 0
		.amdhsa_private_segment_fixed_size 0
		.amdhsa_kernarg_size 88
		.amdhsa_user_sgpr_count 6
		.amdhsa_user_sgpr_private_segment_buffer 1
		.amdhsa_user_sgpr_dispatch_ptr 0
		.amdhsa_user_sgpr_queue_ptr 0
		.amdhsa_user_sgpr_kernarg_segment_ptr 1
		.amdhsa_user_sgpr_dispatch_id 0
		.amdhsa_user_sgpr_flat_scratch_init 0
		.amdhsa_user_sgpr_private_segment_size 0
		.amdhsa_uses_dynamic_stack 0
		.amdhsa_system_sgpr_private_segment_wavefront_offset 0
		.amdhsa_system_sgpr_workgroup_id_x 1
		.amdhsa_system_sgpr_workgroup_id_y 0
		.amdhsa_system_sgpr_workgroup_id_z 0
		.amdhsa_system_sgpr_workgroup_info 0
		.amdhsa_system_vgpr_workitem_id 0
		.amdhsa_next_free_vgpr 221
		.amdhsa_next_free_sgpr 60
		.amdhsa_reserve_vcc 1
		.amdhsa_reserve_flat_scratch 0
		.amdhsa_float_round_mode_32 0
		.amdhsa_float_round_mode_16_64 0
		.amdhsa_float_denorm_mode_32 3
		.amdhsa_float_denorm_mode_16_64 3
		.amdhsa_dx10_clamp 1
		.amdhsa_ieee_mode 1
		.amdhsa_fp16_overflow 0
		.amdhsa_exception_fp_ieee_invalid_op 0
		.amdhsa_exception_fp_denorm_src 0
		.amdhsa_exception_fp_ieee_div_zero 0
		.amdhsa_exception_fp_ieee_overflow 0
		.amdhsa_exception_fp_ieee_underflow 0
		.amdhsa_exception_fp_ieee_inexact 0
		.amdhsa_exception_int_div_zero 0
	.end_amdhsa_kernel
	.text
.Lfunc_end0:
	.size	fft_rtc_back_len1360_factors_17_5_16_wgs_255_tpt_85_halfLds_dp_ip_CI_sbrr_dirReg, .Lfunc_end0-fft_rtc_back_len1360_factors_17_5_16_wgs_255_tpt_85_halfLds_dp_ip_CI_sbrr_dirReg
                                        ; -- End function
	.section	.AMDGPU.csdata,"",@progbits
; Kernel info:
; codeLenInByte = 15640
; NumSgprs: 64
; NumVgprs: 221
; ScratchSize: 0
; MemoryBound: 1
; FloatMode: 240
; IeeeMode: 1
; LDSByteSize: 0 bytes/workgroup (compile time only)
; SGPRBlocks: 7
; VGPRBlocks: 55
; NumSGPRsForWavesPerEU: 64
; NumVGPRsForWavesPerEU: 221
; Occupancy: 1
; WaveLimiterHint : 1
; COMPUTE_PGM_RSRC2:SCRATCH_EN: 0
; COMPUTE_PGM_RSRC2:USER_SGPR: 6
; COMPUTE_PGM_RSRC2:TRAP_HANDLER: 0
; COMPUTE_PGM_RSRC2:TGID_X_EN: 1
; COMPUTE_PGM_RSRC2:TGID_Y_EN: 0
; COMPUTE_PGM_RSRC2:TGID_Z_EN: 0
; COMPUTE_PGM_RSRC2:TIDIG_COMP_CNT: 0
	.type	__hip_cuid_68ec037a6d6ea14b,@object ; @__hip_cuid_68ec037a6d6ea14b
	.section	.bss,"aw",@nobits
	.globl	__hip_cuid_68ec037a6d6ea14b
__hip_cuid_68ec037a6d6ea14b:
	.byte	0                               ; 0x0
	.size	__hip_cuid_68ec037a6d6ea14b, 1

	.ident	"AMD clang version 19.0.0git (https://github.com/RadeonOpenCompute/llvm-project roc-6.4.0 25133 c7fe45cf4b819c5991fe208aaa96edf142730f1d)"
	.section	".note.GNU-stack","",@progbits
	.addrsig
	.addrsig_sym __hip_cuid_68ec037a6d6ea14b
	.amdgpu_metadata
---
amdhsa.kernels:
  - .args:
      - .actual_access:  read_only
        .address_space:  global
        .offset:         0
        .size:           8
        .value_kind:     global_buffer
      - .offset:         8
        .size:           8
        .value_kind:     by_value
      - .actual_access:  read_only
        .address_space:  global
        .offset:         16
        .size:           8
        .value_kind:     global_buffer
      - .actual_access:  read_only
        .address_space:  global
        .offset:         24
        .size:           8
        .value_kind:     global_buffer
      - .offset:         32
        .size:           8
        .value_kind:     by_value
      - .actual_access:  read_only
        .address_space:  global
        .offset:         40
        .size:           8
        .value_kind:     global_buffer
      - .actual_access:  read_only
        .address_space:  global
        .offset:         48
        .size:           8
        .value_kind:     global_buffer
      - .offset:         56
        .size:           4
        .value_kind:     by_value
      - .actual_access:  read_only
        .address_space:  global
        .offset:         64
        .size:           8
        .value_kind:     global_buffer
      - .actual_access:  read_only
        .address_space:  global
        .offset:         72
        .size:           8
        .value_kind:     global_buffer
      - .address_space:  global
        .offset:         80
        .size:           8
        .value_kind:     global_buffer
    .group_segment_fixed_size: 0
    .kernarg_segment_align: 8
    .kernarg_segment_size: 88
    .language:       OpenCL C
    .language_version:
      - 2
      - 0
    .max_flat_workgroup_size: 255
    .name:           fft_rtc_back_len1360_factors_17_5_16_wgs_255_tpt_85_halfLds_dp_ip_CI_sbrr_dirReg
    .private_segment_fixed_size: 0
    .sgpr_count:     64
    .sgpr_spill_count: 0
    .symbol:         fft_rtc_back_len1360_factors_17_5_16_wgs_255_tpt_85_halfLds_dp_ip_CI_sbrr_dirReg.kd
    .uniform_work_group_size: 1
    .uses_dynamic_stack: false
    .vgpr_count:     221
    .vgpr_spill_count: 0
    .wavefront_size: 64
amdhsa.target:   amdgcn-amd-amdhsa--gfx906
amdhsa.version:
  - 1
  - 2
...

	.end_amdgpu_metadata
